;; amdgpu-corpus repo=ROCm/composable_kernel kind=compiled arch=gfx942 opt=O3
	.text
	.amdgcn_target "amdgcn-amd-amdhsa--gfx942"
	.amdhsa_code_object_version 6
	.section	.text._ZN2ckL12flush_icacheEv,"axG",@progbits,_ZN2ckL12flush_icacheEv,comdat
	.globl	_ZN2ckL12flush_icacheEv         ; -- Begin function _ZN2ckL12flush_icacheEv
	.p2align	8
	.type	_ZN2ckL12flush_icacheEv,@function
_ZN2ckL12flush_icacheEv:                ; @_ZN2ckL12flush_icacheEv
; %bb.0:
	;;#ASMSTART
	s_icache_inv 
	s_nop 0 
	s_nop 0 
	;; [unrolled: 1-line block ×16, first 2 shown]
	
	;;#ASMEND
	s_endpgm
	.section	.rodata,"a",@progbits
	.p2align	6, 0x0
	.amdhsa_kernel _ZN2ckL12flush_icacheEv
		.amdhsa_group_segment_fixed_size 0
		.amdhsa_private_segment_fixed_size 0
		.amdhsa_kernarg_size 0
		.amdhsa_user_sgpr_count 0
		.amdhsa_user_sgpr_dispatch_ptr 0
		.amdhsa_user_sgpr_queue_ptr 0
		.amdhsa_user_sgpr_kernarg_segment_ptr 0
		.amdhsa_user_sgpr_dispatch_id 0
		.amdhsa_user_sgpr_kernarg_preload_length 0
		.amdhsa_user_sgpr_kernarg_preload_offset 0
		.amdhsa_user_sgpr_private_segment_size 0
		.amdhsa_uses_dynamic_stack 0
		.amdhsa_enable_private_segment 0
		.amdhsa_system_sgpr_workgroup_id_x 1
		.amdhsa_system_sgpr_workgroup_id_y 0
		.amdhsa_system_sgpr_workgroup_id_z 0
		.amdhsa_system_sgpr_workgroup_info 0
		.amdhsa_system_vgpr_workitem_id 0
		.amdhsa_next_free_vgpr 1
		.amdhsa_next_free_sgpr 0
		.amdhsa_accum_offset 4
		.amdhsa_reserve_vcc 0
		.amdhsa_float_round_mode_32 0
		.amdhsa_float_round_mode_16_64 0
		.amdhsa_float_denorm_mode_32 3
		.amdhsa_float_denorm_mode_16_64 3
		.amdhsa_dx10_clamp 1
		.amdhsa_ieee_mode 1
		.amdhsa_fp16_overflow 0
		.amdhsa_tg_split 0
		.amdhsa_exception_fp_ieee_invalid_op 0
		.amdhsa_exception_fp_denorm_src 0
		.amdhsa_exception_fp_ieee_div_zero 0
		.amdhsa_exception_fp_ieee_overflow 0
		.amdhsa_exception_fp_ieee_underflow 0
		.amdhsa_exception_fp_ieee_inexact 0
		.amdhsa_exception_int_div_zero 0
	.end_amdhsa_kernel
	.section	.text._ZN2ckL12flush_icacheEv,"axG",@progbits,_ZN2ckL12flush_icacheEv,comdat
.Lfunc_end0:
	.size	_ZN2ckL12flush_icacheEv, .Lfunc_end0-_ZN2ckL12flush_icacheEv
                                        ; -- End function
	.section	.AMDGPU.csdata,"",@progbits
; Kernel info:
; codeLenInByte = 140
; NumSgprs: 6
; NumVgprs: 0
; NumAgprs: 0
; TotalNumVgprs: 0
; ScratchSize: 0
; MemoryBound: 0
; FloatMode: 240
; IeeeMode: 1
; LDSByteSize: 0 bytes/workgroup (compile time only)
; SGPRBlocks: 0
; VGPRBlocks: 0
; NumSGPRsForWavesPerEU: 6
; NumVGPRsForWavesPerEU: 1
; AccumOffset: 4
; Occupancy: 8
; WaveLimiterHint : 0
; COMPUTE_PGM_RSRC2:SCRATCH_EN: 0
; COMPUTE_PGM_RSRC2:USER_SGPR: 0
; COMPUTE_PGM_RSRC2:TRAP_HANDLER: 0
; COMPUTE_PGM_RSRC2:TGID_X_EN: 1
; COMPUTE_PGM_RSRC2:TGID_Y_EN: 0
; COMPUTE_PGM_RSRC2:TGID_Z_EN: 0
; COMPUTE_PGM_RSRC2:TIDIG_COMP_CNT: 0
; COMPUTE_PGM_RSRC3_GFX90A:ACCUM_OFFSET: 0
; COMPUTE_PGM_RSRC3_GFX90A:TG_SPLIT: 0
	.section	.text._ZN2ck27kernel_gemm_xdl_cshuffle_v3INS_28GridwiseGemm_xdl_cshuffle_v3INS_13tensor_layout4gemm8RowMajorENS3_11ColumnMajorES4_NS_9f8_fnuz_tES6_fDF16_DF16_NS_16tensor_operation12element_wise11PassThroughES9_S9_LNS7_6device18GemmSpecializationE0ELi256ELi224ELi256ELi128ELi16ELi16ELi16ELi16ELi7ELi8ENS_8SequenceIJLi8ELi32ELi1EEEENSC_IJLi1ELi0ELi2EEEESE_Li2ELi16ELi16ELb0ELi0ESD_SE_SE_Li2ELi16ELi16ELb0ELi0ELi1ELi2ENSC_IJLi1ELi32ELi1ELi8EEEELi4ELNS_26BlockGemmPipelineSchedulerE0ELNS_24BlockGemmPipelineVersionE2ES6_S6_Lb0ELb0ELb0ELi0ELb0EEELb1ELNS_25InMemoryDataOperationEnumE1ELi1ELNS_10TailNumberE10EEEvNT_8ArgumentE,"axG",@progbits,_ZN2ck27kernel_gemm_xdl_cshuffle_v3INS_28GridwiseGemm_xdl_cshuffle_v3INS_13tensor_layout4gemm8RowMajorENS3_11ColumnMajorES4_NS_9f8_fnuz_tES6_fDF16_DF16_NS_16tensor_operation12element_wise11PassThroughES9_S9_LNS7_6device18GemmSpecializationE0ELi256ELi224ELi256ELi128ELi16ELi16ELi16ELi16ELi7ELi8ENS_8SequenceIJLi8ELi32ELi1EEEENSC_IJLi1ELi0ELi2EEEESE_Li2ELi16ELi16ELb0ELi0ESD_SE_SE_Li2ELi16ELi16ELb0ELi0ELi1ELi2ENSC_IJLi1ELi32ELi1ELi8EEEELi4ELNS_26BlockGemmPipelineSchedulerE0ELNS_24BlockGemmPipelineVersionE2ES6_S6_Lb0ELb0ELb0ELi0ELb0EEELb1ELNS_25InMemoryDataOperationEnumE1ELi1ELNS_10TailNumberE10EEEvNT_8ArgumentE,comdat
	.protected	_ZN2ck27kernel_gemm_xdl_cshuffle_v3INS_28GridwiseGemm_xdl_cshuffle_v3INS_13tensor_layout4gemm8RowMajorENS3_11ColumnMajorES4_NS_9f8_fnuz_tES6_fDF16_DF16_NS_16tensor_operation12element_wise11PassThroughES9_S9_LNS7_6device18GemmSpecializationE0ELi256ELi224ELi256ELi128ELi16ELi16ELi16ELi16ELi7ELi8ENS_8SequenceIJLi8ELi32ELi1EEEENSC_IJLi1ELi0ELi2EEEESE_Li2ELi16ELi16ELb0ELi0ESD_SE_SE_Li2ELi16ELi16ELb0ELi0ELi1ELi2ENSC_IJLi1ELi32ELi1ELi8EEEELi4ELNS_26BlockGemmPipelineSchedulerE0ELNS_24BlockGemmPipelineVersionE2ES6_S6_Lb0ELb0ELb0ELi0ELb0EEELb1ELNS_25InMemoryDataOperationEnumE1ELi1ELNS_10TailNumberE10EEEvNT_8ArgumentE ; -- Begin function _ZN2ck27kernel_gemm_xdl_cshuffle_v3INS_28GridwiseGemm_xdl_cshuffle_v3INS_13tensor_layout4gemm8RowMajorENS3_11ColumnMajorES4_NS_9f8_fnuz_tES6_fDF16_DF16_NS_16tensor_operation12element_wise11PassThroughES9_S9_LNS7_6device18GemmSpecializationE0ELi256ELi224ELi256ELi128ELi16ELi16ELi16ELi16ELi7ELi8ENS_8SequenceIJLi8ELi32ELi1EEEENSC_IJLi1ELi0ELi2EEEESE_Li2ELi16ELi16ELb0ELi0ESD_SE_SE_Li2ELi16ELi16ELb0ELi0ELi1ELi2ENSC_IJLi1ELi32ELi1ELi8EEEELi4ELNS_26BlockGemmPipelineSchedulerE0ELNS_24BlockGemmPipelineVersionE2ES6_S6_Lb0ELb0ELb0ELi0ELb0EEELb1ELNS_25InMemoryDataOperationEnumE1ELi1ELNS_10TailNumberE10EEEvNT_8ArgumentE
	.globl	_ZN2ck27kernel_gemm_xdl_cshuffle_v3INS_28GridwiseGemm_xdl_cshuffle_v3INS_13tensor_layout4gemm8RowMajorENS3_11ColumnMajorES4_NS_9f8_fnuz_tES6_fDF16_DF16_NS_16tensor_operation12element_wise11PassThroughES9_S9_LNS7_6device18GemmSpecializationE0ELi256ELi224ELi256ELi128ELi16ELi16ELi16ELi16ELi7ELi8ENS_8SequenceIJLi8ELi32ELi1EEEENSC_IJLi1ELi0ELi2EEEESE_Li2ELi16ELi16ELb0ELi0ESD_SE_SE_Li2ELi16ELi16ELb0ELi0ELi1ELi2ENSC_IJLi1ELi32ELi1ELi8EEEELi4ELNS_26BlockGemmPipelineSchedulerE0ELNS_24BlockGemmPipelineVersionE2ES6_S6_Lb0ELb0ELb0ELi0ELb0EEELb1ELNS_25InMemoryDataOperationEnumE1ELi1ELNS_10TailNumberE10EEEvNT_8ArgumentE
	.p2align	8
	.type	_ZN2ck27kernel_gemm_xdl_cshuffle_v3INS_28GridwiseGemm_xdl_cshuffle_v3INS_13tensor_layout4gemm8RowMajorENS3_11ColumnMajorES4_NS_9f8_fnuz_tES6_fDF16_DF16_NS_16tensor_operation12element_wise11PassThroughES9_S9_LNS7_6device18GemmSpecializationE0ELi256ELi224ELi256ELi128ELi16ELi16ELi16ELi16ELi7ELi8ENS_8SequenceIJLi8ELi32ELi1EEEENSC_IJLi1ELi0ELi2EEEESE_Li2ELi16ELi16ELb0ELi0ESD_SE_SE_Li2ELi16ELi16ELb0ELi0ELi1ELi2ENSC_IJLi1ELi32ELi1ELi8EEEELi4ELNS_26BlockGemmPipelineSchedulerE0ELNS_24BlockGemmPipelineVersionE2ES6_S6_Lb0ELb0ELb0ELi0ELb0EEELb1ELNS_25InMemoryDataOperationEnumE1ELi1ELNS_10TailNumberE10EEEvNT_8ArgumentE,@function
_ZN2ck27kernel_gemm_xdl_cshuffle_v3INS_28GridwiseGemm_xdl_cshuffle_v3INS_13tensor_layout4gemm8RowMajorENS3_11ColumnMajorES4_NS_9f8_fnuz_tES6_fDF16_DF16_NS_16tensor_operation12element_wise11PassThroughES9_S9_LNS7_6device18GemmSpecializationE0ELi256ELi224ELi256ELi128ELi16ELi16ELi16ELi16ELi7ELi8ENS_8SequenceIJLi8ELi32ELi1EEEENSC_IJLi1ELi0ELi2EEEESE_Li2ELi16ELi16ELb0ELi0ESD_SE_SE_Li2ELi16ELi16ELb0ELi0ELi1ELi2ENSC_IJLi1ELi32ELi1ELi8EEEELi4ELNS_26BlockGemmPipelineSchedulerE0ELNS_24BlockGemmPipelineVersionE2ES6_S6_Lb0ELb0ELb0ELi0ELb0EEELb1ELNS_25InMemoryDataOperationEnumE1ELi1ELNS_10TailNumberE10EEEvNT_8ArgumentE: ; @_ZN2ck27kernel_gemm_xdl_cshuffle_v3INS_28GridwiseGemm_xdl_cshuffle_v3INS_13tensor_layout4gemm8RowMajorENS3_11ColumnMajorES4_NS_9f8_fnuz_tES6_fDF16_DF16_NS_16tensor_operation12element_wise11PassThroughES9_S9_LNS7_6device18GemmSpecializationE0ELi256ELi224ELi256ELi128ELi16ELi16ELi16ELi16ELi7ELi8ENS_8SequenceIJLi8ELi32ELi1EEEENSC_IJLi1ELi0ELi2EEEESE_Li2ELi16ELi16ELb0ELi0ESD_SE_SE_Li2ELi16ELi16ELb0ELi0ELi1ELi2ENSC_IJLi1ELi32ELi1ELi8EEEELi4ELNS_26BlockGemmPipelineSchedulerE0ELNS_24BlockGemmPipelineVersionE2ES6_S6_Lb0ELb0ELb0ELi0ELb0EEELb1ELNS_25InMemoryDataOperationEnumE1ELi1ELNS_10TailNumberE10EEEvNT_8ArgumentE
; %bb.0:
	s_load_dwordx8 s[20:27], s[0:1], 0x10
	s_load_dword s12, s[0:1], 0x68
	s_load_dwordx2 s[8:9], s[0:1], 0x60
	s_load_dwordx4 s[4:7], s[0:1], 0x50
	v_mov_b32_e32 v76, v0
	s_waitcnt lgkmcnt(0)
	s_cmp_gt_i32 s26, 1
	s_cselect_b64 s[10:11], -1, 0
	s_bitcmp1_b32 s12, 0
	s_cselect_b64 s[12:13], -1, 0
	s_and_b64 s[10:11], s[10:11], s[12:13]
	s_andn2_b64 vcc, exec, s[10:11]
	s_mov_b64 s[10:11], 0
	s_cbranch_vccnz .LBB1_2
; %bb.1:
	s_mul_i32 s10, s20, s3
	s_mul_i32 s10, s10, s21
	s_ashr_i32 s11, s10, 31
.LBB1_2:
	s_load_dword s12, s[0:1], 0x34
	s_load_dword s16, s[0:1], 0x3c
	s_add_i32 s0, s20, -1
	s_cmpk_lt_u32 s0, 0xe0
	s_mov_b32 s13, 0
	s_cbranch_scc1 .LBB1_10
; %bb.3:
	s_add_i32 s0, s21, -1
	s_cmpk_lt_u32 s0, 0x100
	s_mov_b32 s0, 0
	s_cbranch_scc1 .LBB1_9
; %bb.4:
	s_add_i32 s0, s20, 0xdf
	s_mul_hi_i32 s1, s0, 0x92492493
	s_add_i32 s1, s1, s0
	s_lshr_b32 s0, s1, 31
	s_ashr_i32 s14, s1, 7
	s_add_i32 s14, s14, s0
	s_add_i32 s0, s21, 0xff
	s_ashr_i32 s1, s0, 31
	s_lshr_b32 s1, s1, 24
	s_add_i32 s0, s0, s1
	s_ashr_i32 s13, s0, 8
	s_mul_i32 s0, s13, s14
	s_add_i32 s1, s0, 7
	s_ashr_i32 s15, s1, 31
	s_lshr_b32 s15, s15, 29
	s_add_i32 s1, s1, s15
	s_ashr_i32 s15, s1, 3
	s_and_b32 s1, s1, -8
	s_sub_i32 s17, s0, s1
	s_ashr_i32 s0, s2, 31
	s_lshr_b32 s0, s0, 29
	s_add_i32 s19, s2, s0
	s_and_b32 s0, s19, -8
	s_add_i32 s17, s17, 8
	s_sub_i32 s18, s2, s0
	s_cmp_gt_i32 s18, s17
	s_cbranch_scc1 .LBB1_6
; %bb.5:
	s_mul_i32 s2, s15, s18
	s_ashr_i32 s0, s19, 3
	s_cbranch_execz .LBB1_7
	s_branch .LBB1_8
.LBB1_6:
                                        ; implicit-def: $sgpr2
	s_ashr_i32 s0, s19, 3
.LBB1_7:
	s_add_i32 s1, s15, -1
	s_mul_i32 s1, s1, s18
	s_add_i32 s2, s17, s1
.LBB1_8:
	s_abs_i32 s1, s13
	v_cvt_f32_u32_e32 v0, s1
	s_sub_i32 s17, 0, s1
	s_add_i32 s0, s2, s0
	s_abs_i32 s15, s0
	v_rcp_iflag_f32_e32 v0, v0
	s_xor_b32 s2, s0, s13
	s_ashr_i32 s2, s2, 31
	v_mul_f32_e32 v0, 0x4f7ffffe, v0
	v_cvt_u32_f32_e32 v0, v0
	s_nop 0
	v_readfirstlane_b32 s18, v0
	s_mul_i32 s17, s17, s18
	s_mul_hi_u32 s17, s18, s17
	s_add_i32 s18, s18, s17
	s_mul_hi_u32 s17, s15, s18
	s_mul_i32 s18, s17, s1
	s_sub_i32 s15, s15, s18
	s_add_i32 s19, s17, 1
	s_sub_i32 s18, s15, s1
	s_cmp_ge_u32 s15, s1
	s_cselect_b32 s17, s19, s17
	s_cselect_b32 s15, s18, s15
	s_add_i32 s18, s17, 1
	s_cmp_ge_u32 s15, s1
	s_cselect_b32 s1, s18, s17
	s_xor_b32 s1, s1, s2
	s_lshr_b32 s15, s14, 30
	s_sub_i32 s1, s1, s2
	s_add_i32 s15, s14, s15
	s_mul_i32 s2, s1, s13
	s_sub_i32 s0, s0, s2
	s_and_b32 s2, s15, -4
	s_sub_i32 s14, s14, s2
	s_cmp_ge_i32 s1, s2
	s_cselect_b32 s2, s14, 4
	s_abs_i32 s15, s2
	v_cvt_f32_u32_e32 v0, s15
	s_ashr_i32 s14, s1, 31
	s_lshr_b32 s14, s14, 30
	s_add_i32 s14, s1, s14
	v_rcp_iflag_f32_e32 v0, v0
	s_and_b32 s14, s14, -4
	s_sub_i32 s14, s1, s14
	s_sub_i32 s18, 0, s15
	v_mul_f32_e32 v0, 0x4f7ffffe, v0
	v_cvt_u32_f32_e32 v0, v0
	s_mul_i32 s13, s14, s13
	s_add_i32 s13, s13, s0
	s_abs_i32 s17, s13
	v_readfirstlane_b32 s19, v0
	s_mul_i32 s18, s18, s19
	s_mul_hi_u32 s18, s19, s18
	s_add_i32 s19, s19, s18
	s_mul_hi_u32 s18, s17, s19
	s_mul_i32 s19, s18, s15
	s_xor_b32 s0, s13, s2
	s_sub_i32 s17, s17, s19
	s_ashr_i32 s0, s0, 31
	s_add_i32 s19, s18, 1
	s_sub_i32 s27, s17, s15
	s_cmp_ge_u32 s17, s15
	s_cselect_b32 s18, s19, s18
	s_cselect_b32 s17, s27, s17
	s_add_i32 s19, s18, 1
	s_cmp_ge_u32 s17, s15
	s_cselect_b32 s15, s19, s18
	s_xor_b32 s15, s15, s0
	s_sub_i32 s0, s15, s0
	s_mul_i32 s2, s0, s2
	s_sub_i32 s2, s13, s2
	s_add_i32 s2, s2, s1
	s_sub_i32 s2, s2, s14
.LBB1_9:
	s_mov_b32 s13, s2
	s_mov_b32 s2, s0
.LBB1_10:
	s_waitcnt lgkmcnt(0)
	s_mul_i32 s14, s12, s3
	s_ashr_i32 s15, s14, 31
	s_add_u32 s0, s4, s14
	s_addc_u32 s1, s5, s15
	s_add_u32 s4, s6, s14
	s_addc_u32 s5, s7, s15
	s_add_u32 s14, 0, 0
	s_addc_u32 s15, s20, -1
	s_add_u32 s7, 0, 0
	s_addc_u32 s7, s21, -1
	s_add_i32 s17, s26, -1
	s_mul_i32 s18, s17, s12
	s_sub_i32 s18, s22, s18
	s_cmp_lt_u32 s3, s17
	s_cselect_b32 s17, s12, s18
	s_mul_i32 s12, s13, 0xe0
	v_lshrrev_b32_e32 v77, 3, v76
	v_and_b32_e32 v79, 7, v76
	v_mul_u32_u24_e32 v1, 7, v77
	v_mad_u32_u24 v2, v77, 7, s12
	v_lshlrev_b32_e32 v0, 4, v79
	s_lshl_b32 s13, s2, 8
	v_mad_u64_u32 v[4:5], s[2:3], v2, s23, v[0:1]
	v_xor_b32_e32 v1, v1, v76
	v_and_b32_e32 v15, 7, v1
	v_mul_u32_u24_e32 v1, 0x380, v77
	v_lshl_or_b32 v72, v15, 4, v1
	v_and_b32_e32 v1, 0xf8, v76
	v_add_u32_e32 v2, s13, v1
	v_mad_u64_u32 v[6:7], s[2:3], v2, s24, v[0:1]
	v_lshl_or_b32 v73, v1, 7, v0
	v_and_b32_e32 v0, 63, v76
	v_and_b32_e32 v1, 48, v76
	v_sub_u32_e32 v0, v0, v1
	v_and_b32_e32 v1, 16, v77
	v_add_u32_e32 v14, v0, v1
	v_lshrrev_b16_e32 v1, 13, v14
	v_add_u16_e32 v1, v14, v1
	v_and_b32_e32 v1, -8, v1
	v_sub_u16_e32 v31, v14, v1
	v_lshrrev_b32_e32 v1, 2, v76
	v_and_b32_e32 v1, 16, v1
	scratch_store_dword off, v1, off offset:1144 ; 4-byte Folded Spill
	v_add_u32_e32 v0, v0, v1
	v_mov_b32_e32 v1, 12
	v_lshrrev_b16_sdwa v2, v1, sext(v0) dst_sel:DWORD dst_unused:UNUSED_PAD src0_sel:DWORD src1_sel:BYTE_0
	v_and_b32_e32 v2, 7, v2
	v_add_u16_e32 v2, v0, v2
	s_ashr_i32 s2, s16, 31
	v_and_b32_e32 v2, 0xf8, v2
	s_lshr_b32 s2, s2, 29
	v_and_b32_e32 v80, 6, v77
	v_sub_u16_e32 v26, v0, v2
	s_add_i32 s16, s16, s2
	s_mul_i32 s6, s15, s23
	s_mul_i32 s7, s7, s24
	v_xor_b32_sdwa v28, v80, sext(v31) dst_sel:DWORD dst_unused:UNUSED_PAD src0_sel:DWORD src1_sel:WORD_0
	v_lshlrev_b32_e32 v30, 7, v14
	v_xor_b32_sdwa v24, v80, sext(v26) dst_sel:DWORD dst_unused:UNUSED_PAD src0_sel:DWORD src1_sel:BYTE_0
	v_lshlrev_b32_e32 v25, 7, v0
	s_ashr_i32 s16, s16, 3
	; sched_barrier mask(0x00000000)
	s_add_i32 s2, s17, s6
	s_mov_b32 s3, 0x20000
	buffer_load_dwordx4 v[16:19], v4, s[0:3], 0 offen
	v_add_u32_e32 v2, s23, v4
	buffer_load_dwordx4 v[20:23], v2, s[0:3], 0 offen
	v_add_u32_e32 v2, s23, v2
	buffer_load_dwordx4 v[32:35], v2, s[0:3], 0 offen
	v_add_u32_e32 v2, s23, v2
	buffer_load_dwordx4 v[36:39], v2, s[0:3], 0 offen
	v_add_u32_e32 v2, s23, v2
	buffer_load_dwordx4 v[40:43], v2, s[0:3], 0 offen
	v_add_u32_e32 v2, s23, v2
	buffer_load_dwordx4 v[44:47], v2, s[0:3], 0 offen
	v_add_u32_e32 v74, s23, v2
	buffer_load_dwordx4 v[48:51], v74, s[0:3], 0 offen
	v_accvgpr_write_b32 a0, v4
	v_mov_b32_e32 v4, v6
	s_add_i32 s6, s17, s7
	s_mov_b32 s7, s3
	v_add_u32_e32 v2, s24, v4
	buffer_load_dwordx4 v[52:55], v6, s[4:7], 0 offen
	buffer_load_dwordx4 v[56:59], v2, s[4:7], 0 offen
	v_add_u32_e32 v2, s24, v2
	buffer_load_dwordx4 v[60:63], v2, s[4:7], 0 offen
	v_add_u32_e32 v2, s24, v2
	;; [unrolled: 2-line block ×5, first 2 shown]
	v_accvgpr_write_b32 a2, v6
	buffer_load_dwordx4 v[6:9], v2, s[4:7], 0 offen
	v_add_u32_e32 v75, s24, v2
	buffer_load_dwordx4 v[2:5], v75, s[4:7], 0 offen
	s_mul_i32 s17, s23, -6
	scratch_store_dword off, v77, off offset:1140 ; 4-byte Folded Spill
	scratch_store_dword off, v76, off offset:1136 ; 4-byte Folded Spill
	s_addk_i32 s17, 0x80
	v_add_u32_e32 v74, s17, v74
	s_mul_i32 s17, s24, -7
	s_addk_i32 s17, 0x80
	v_add_u32_e32 v75, s17, v75
	v_or_b32_e32 v90, 1, v80
	v_xor_b32_sdwa v31, v90, sext(v31) dst_sel:DWORD dst_unused:UNUSED_PAD src0_sel:DWORD src1_sel:WORD_0
	v_lshlrev_b32_e32 v31, 4, v31
	v_xor_b32_e32 v91, v90, v79
	v_add_u16_e32 v0, 32, v0
	v_lshrrev_b16_sdwa v1, v1, sext(v0) dst_sel:DWORD dst_unused:UNUSED_PAD src0_sel:DWORD src1_sel:BYTE_0
	v_and_b32_e32 v1, 7, v1
	v_add_u16_e32 v1, v0, v1
	v_and_b32_e32 v1, 0xf8, v1
	v_xor_b32_sdwa v26, v90, sext(v26) dst_sel:DWORD dst_unused:UNUSED_PAD src0_sel:DWORD src1_sel:BYTE_0
	v_lshlrev_b32_e32 v26, 4, v26
	s_waitcnt vmcnt(16)
	ds_write_b128 v72, v[16:19]
	v_mad_u32_u24 v16, v77, 7, 1
	v_xor_b32_e32 v16, v16, v76
	v_and_b32_e32 v16, 7, v16
	v_mad_u32_u24 v18, v77, 7, 2
	v_sub_u32_e32 v17, v16, v15
	v_xor_b32_e32 v18, v18, v76
	v_lshlrev_b32_e32 v17, 4, v17
	v_and_b32_e32 v18, 7, v18
	v_add_u32_e32 v78, 0x80, v17
	v_add_u32_e32 v17, v72, v17
	v_sub_u32_e32 v16, v18, v16
	v_mov_b32_e32 v19, 0x80
	s_waitcnt vmcnt(15)
	ds_write_b128 v17, v[20:23] offset:128
	v_lshl_add_u32 v20, v16, 4, v19
	v_add3_u32 v16, v78, v72, v20
	scratch_store_dword off, v20, off offset:1028 ; 4-byte Folded Spill
	v_add_u32_e32 v17, v17, v20
	v_mad_u32_u24 v20, v77, 7, 3
	v_xor_b32_e32 v20, v20, v76
	v_and_b32_e32 v20, 7, v20
	v_sub_u32_e32 v18, v20, v18
	v_lshl_add_u32 v21, v18, 4, v19
	v_xor_b32_e32 v18, 4, v15
	v_sub_u32_e32 v20, v18, v20
	s_waitcnt vmcnt(15)
	ds_write_b128 v17, v[32:35] offset:128
	v_add_u32_e32 v17, v17, v21
	v_lshl_add_u32 v20, v20, 4, v19
	s_waitcnt vmcnt(14)
	ds_write_b128 v17, v[36:39] offset:128
	v_add3_u32 v16, v16, v21, v20
	scratch_store_dword off, v20, off offset:1036 ; 4-byte Folded Spill
	v_add_u32_e32 v17, v17, v20
	v_mad_u32_u24 v20, v77, 7, 5
	v_xor_b32_e32 v20, v20, v76
	v_and_b32_e32 v20, 7, v20
	v_sub_u32_e32 v18, v20, v18
	scratch_store_dword off, v21, off offset:1032 ; 4-byte Folded Spill
	v_lshl_add_u32 v21, v18, 4, v19
	v_mad_u32_u24 v18, v77, 7, 6
	v_xor_b32_e32 v18, v18, v76
	v_and_b32_e32 v18, 7, v18
	v_sub_u32_e32 v20, v18, v20
	v_lshl_add_u32 v20, v20, 4, v19
	s_waitcnt vmcnt(15)
	ds_write_b128 v17, v[40:43] offset:128
	v_add_u32_e32 v17, v17, v21
	v_add3_u32 v16, v16, v21, v20
	scratch_store_dword off, v78, off offset:1024 ; 4-byte Folded Spill
	s_waitcnt vmcnt(15)
	ds_write_b128 v17, v[44:47] offset:128
	scratch_store_dword off, v21, off offset:1040 ; 4-byte Folded Spill
	scratch_store_dword off, v16, off offset:496 ; 4-byte Folded Spill
	;; [unrolled: 1-line block ×3, first 2 shown]
	v_add_u32_e32 v16, v17, v20
	s_waitcnt vmcnt(17)
	ds_write_b128 v16, v[48:51] offset:128
	v_sub_u32_e32 v15, v15, v18
	v_mov_b32_e32 v16, 0xfffffd00
	v_lshl_add_u32 v15, v15, 4, v16
	scratch_store_dword off, v15, off offset:1048 ; 4-byte Folded Spill
	v_xor_b32_e32 v15, 1, v79
	v_sub_u32_e32 v16, v15, v79
	v_lshlrev_b32_e32 v17, 4, v16
	v_add_u32_e32 v16, 0x80, v17
	scratch_store_dword off, v17, off offset:1052 ; 4-byte Folded Spill
	v_add_u32_e32 v17, v73, v17
	s_waitcnt vmcnt(18)
	ds_write_b128 v73, v[52:55] offset:28672
	s_waitcnt vmcnt(17)
	ds_write_b128 v17, v[56:59] offset:28800
	v_xor_b32_e32 v17, 2, v79
	v_sub_u32_e32 v15, v17, v15
	v_xor_b32_e32 v18, 3, v79
	scratch_store_dword off, v16, off offset:1056 ; 4-byte Folded Spill
	v_add_u32_e32 v16, v16, v73
	v_lshlrev_b32_e32 v15, 4, v15
	v_sub_u32_e32 v17, v18, v17
	v_add_u32_e32 v20, 0x80, v15
	v_add_u32_e32 v15, v15, v16
	v_lshl_add_u32 v17, v17, 4, v19
	s_waitcnt vmcnt(17)
	ds_write_b128 v15, v[60:63] offset:28800
	v_add3_u32 v16, v20, v16, v17
	scratch_store_dword off, v17, off offset:1064 ; 4-byte Folded Spill
	v_add_u32_e32 v15, v15, v17
	v_xor_b32_e32 v17, 4, v79
	v_sub_u32_e32 v18, v17, v18
	scratch_store_dword off, v20, off offset:1060 ; 4-byte Folded Spill
	v_lshl_add_u32 v20, v18, 4, v19
	v_xor_b32_e32 v18, 5, v79
	v_sub_u32_e32 v17, v18, v17
	s_waitcnt vmcnt(18)
	ds_write_b128 v15, v[64:67] offset:28800
	v_add_u32_e32 v15, v15, v20
	v_lshl_add_u32 v17, v17, 4, v19
	s_waitcnt vmcnt(17)
	ds_write_b128 v15, v[68:71] offset:28800
	v_add_u32_e32 v15, v15, v17
	s_waitcnt vmcnt(16)
	ds_write_b128 v15, v[10:13] offset:28800
	v_xor_b32_e32 v10, 6, v79
	v_sub_u32_e32 v11, v10, v18
	v_lshl_add_u32 v12, v11, 4, v19
	v_add_u32_e32 v11, v15, v12
	s_waitcnt vmcnt(15)
	ds_write_b128 v11, v[6:9] offset:28800
	v_xor_b32_e32 v6, 7, v79
	v_sub_u32_e32 v7, v6, v10
	v_add3_u32 v16, v16, v20, v17
	v_lshl_add_u32 v7, v7, 4, v19
	v_add3_u32 v8, v16, v12, v7
	scratch_store_dword off, v20, off offset:1068 ; 4-byte Folded Spill
	scratch_store_dword off, v17, off offset:1072 ; 4-byte Folded Spill
	;; [unrolled: 1-line block ×5, first 2 shown]
	v_add_u32_e32 v7, v11, v7
	s_waitcnt vmcnt(19)
	ds_write_b128 v7, v[2:5] offset:28800
	v_sub_u32_e32 v2, v79, v6
	v_mov_b32_e32 v3, 0xfffffc80
	v_lshl_add_u32 v2, v2, 4, v3
	scratch_store_dword off, v2, off offset:1084 ; 4-byte Folded Spill
	buffer_load_dwordx4 v[2:5], v74, s[0:3], 0 offen
	v_lshl_add_u32 v52, v28, 4, v30
	v_add_u32_e32 v30, v31, v30
	v_sub_u16_e32 v56, v0, v1
	v_xor_b32_sdwa v0, v80, sext(v56) dst_sel:DWORD dst_unused:UNUSED_PAD src0_sel:DWORD src1_sel:BYTE_0
	v_sub_u32_e32 v0, v0, v24
	v_lshlrev_b32_e32 v0, 4, v0
	s_waitcnt vmcnt(0)
	scratch_store_dwordx4 off, v[2:5], off offset:564 ; 16-byte Folded Spill
	s_nop 1
	v_add_u32_e32 v2, s23, v74
	buffer_load_dwordx4 v[4:7], v2, s[0:3], 0 offen
	v_add_u32_e32 v2, s23, v2
	s_waitcnt vmcnt(0)
	scratch_store_dwordx4 off, v[4:7], off offset:548 ; 16-byte Folded Spill
	buffer_load_dwordx4 v[4:7], v2, s[0:3], 0 offen
	v_add_u32_e32 v2, s23, v2
	s_waitcnt vmcnt(0)
	scratch_store_dwordx4 off, v[4:7], off offset:532 ; 16-byte Folded Spill
	;; [unrolled: 4-line block ×4, first 2 shown]
	buffer_load_dwordx4 v[4:7], v2, s[0:3], 0 offen
	v_add_u32_e32 v2, s23, v2
                                        ; kill: killed $vgpr2
	s_waitcnt vmcnt(0)
	scratch_store_dwordx4 off, v[4:7], off offset:336 ; 16-byte Folded Spill
	buffer_load_dwordx4 v[4:7], v2, s[0:3], 0 offen
	v_add_u32_e32 v2, s24, v75
	s_waitcnt vmcnt(0)
	scratch_store_dwordx4 off, v[4:7], off offset:352 ; 16-byte Folded Spill
	buffer_load_dwordx4 v[4:7], v75, s[4:7], 0 offen
	s_waitcnt vmcnt(0)
	scratch_store_dwordx4 off, v[4:7], off offset:368 ; 16-byte Folded Spill
	buffer_load_dwordx4 v[4:7], v2, s[4:7], 0 offen
	v_add_u32_e32 v2, s24, v2
	s_waitcnt vmcnt(0)
	scratch_store_dwordx4 off, v[4:7], off offset:384 ; 16-byte Folded Spill
	buffer_load_dwordx4 v[4:7], v2, s[4:7], 0 offen
	v_add_u32_e32 v2, s24, v2
	;; [unrolled: 4-line block ×6, first 2 shown]
	s_waitcnt vmcnt(0)
	scratch_store_dwordx4 off, v[4:7], off offset:464 ; 16-byte Folded Spill
	buffer_load_dwordx4 v[2:5], v2, s[4:7], 0 offen
	s_waitcnt vmcnt(0)
	scratch_store_dwordx4 off, v[2:5], off offset:480 ; 16-byte Folded Spill
	s_waitcnt lgkmcnt(0)
	s_barrier
	ds_read_b128 v[146:149], v52
	s_waitcnt lgkmcnt(0)
	v_lshrrev_b32_e32 v2, 16, v146
	scratch_store_dword off, v2, off offset:800 ; 4-byte Folded Spill
	v_lshrrev_b32_e32 v2, 24, v146
	scratch_store_dword off, v2, off offset:808 ; 4-byte Folded Spill
	;; [unrolled: 2-line block ×8, first 2 shown]
	v_add_u16_e32 v2, 32, v14
	v_ashrrev_i16_e32 v3, 15, v2
	v_lshrrev_b16_e32 v3, 13, v3
	v_add_u16_e32 v3, v2, v3
	v_and_b32_e32 v3, -8, v3
	v_sub_u16_e32 v38, v2, v3
	v_xor_b32_sdwa v2, v80, sext(v38) dst_sel:DWORD dst_unused:UNUSED_PAD src0_sel:DWORD src1_sel:WORD_0
	v_sub_u32_e32 v2, v2, v28
	v_lshlrev_b32_e32 v2, 4, v2
	v_add_u32_e32 v2, v52, v2
	ds_read_b128 v[138:141], v2 offset:4096
	scratch_store_dword off, v2, off offset:1092 ; 4-byte Folded Spill
	v_lshrrev_b32_e32 v48, 8, v146
	v_lshrrev_b32_e32 v49, 8, v147
	v_lshrrev_b32_e32 v37, 8, v148
	s_waitcnt lgkmcnt(0)
	v_lshrrev_b32_e32 v2, 8, v138
	scratch_store_dword off, v2, off offset:860 ; 4-byte Folded Spill
	v_lshrrev_b32_e32 v2, 16, v138
	scratch_store_dword off, v2, off offset:732 ; 4-byte Folded Spill
	;; [unrolled: 2-line block ×12, first 2 shown]
	v_xor_b32_e32 v2, v80, v79
	v_sub_u32_e32 v3, v2, v28
	v_lshl_add_u32 v3, v3, 4, v52
	ds_read_b128 v[134:137], v3 offset:8192
	ds_read_b128 v[126:129], v3 offset:12288
	;; [unrolled: 1-line block ×4, first 2 shown]
	v_lshrrev_b32_e32 v36, 8, v149
	s_waitcnt lgkmcnt(3)
	v_lshrrev_b32_e32 v4, 8, v134
	scratch_store_dword off, v4, off offset:876 ; 4-byte Folded Spill
	v_lshrrev_b32_e32 v4, 16, v134
	scratch_store_dword off, v4, off offset:756 ; 4-byte Folded Spill
	v_lshrrev_b32_e32 v4, 24, v134
	scratch_store_dword off, v4, off offset:764 ; 4-byte Folded Spill
	v_lshrrev_b32_e32 v4, 8, v135
	scratch_store_dword off, v4, off offset:888 ; 4-byte Folded Spill
	v_lshrrev_b32_e32 v4, 16, v135
	scratch_store_dword off, v4, off offset:776 ; 4-byte Folded Spill
	v_lshrrev_b32_e32 v4, 24, v135
	scratch_store_dword off, v4, off offset:784 ; 4-byte Folded Spill
	v_lshrrev_b32_e32 v4, 8, v136
	scratch_store_dword off, v4, off offset:872 ; 4-byte Folded Spill
	v_lshrrev_b32_e32 v4, 16, v136
	scratch_store_dword off, v4, off offset:760 ; 4-byte Folded Spill
	v_lshrrev_b32_e32 v4, 24, v136
	scratch_store_dword off, v4, off offset:772 ; 4-byte Folded Spill
	v_lshrrev_b32_e32 v4, 8, v137
	scratch_store_dword off, v4, off offset:884 ; 4-byte Folded Spill
	v_lshrrev_b32_e32 v4, 16, v137
	scratch_store_dword off, v4, off offset:780 ; 4-byte Folded Spill
	v_lshrrev_b32_e32 v4, 24, v137
	scratch_store_dword off, v4, off offset:788 ; 4-byte Folded Spill
	s_waitcnt lgkmcnt(2)
	v_lshrrev_b32_e32 v4, 8, v126
	scratch_store_dword off, v4, off offset:880 ; 4-byte Folded Spill
	v_lshrrev_b32_e32 v4, 16, v126
	scratch_store_dword off, v4, off offset:640 ; 4-byte Folded Spill
	v_lshrrev_b32_e32 v4, 24, v126
	scratch_store_dword off, v4, off offset:652 ; 4-byte Folded Spill
	v_lshrrev_b32_e32 v4, 8, v127
	scratch_store_dword off, v4, off offset:892 ; 4-byte Folded Spill
	v_lshrrev_b32_e32 v4, 16, v127
	scratch_store_dword off, v4, off offset:664 ; 4-byte Folded Spill
	v_lshrrev_b32_e32 v4, 24, v127
	scratch_store_dword off, v4, off offset:688 ; 4-byte Folded Spill
	v_lshrrev_b32_e32 v4, 8, v128
	scratch_store_dword off, v4, off offset:896 ; 4-byte Folded Spill
	v_lshrrev_b32_e32 v4, 16, v128
	scratch_store_dword off, v4, off offset:648 ; 4-byte Folded Spill
	v_lshrrev_b32_e32 v4, 24, v128
	scratch_store_dword off, v4, off offset:660 ; 4-byte Folded Spill
	v_lshrrev_b32_e32 v4, 8, v129
	scratch_store_dword off, v4, off offset:900 ; 4-byte Folded Spill
	v_lshrrev_b32_e32 v4, 16, v129
	scratch_store_dword off, v4, off offset:672 ; 4-byte Folded Spill
	v_lshrrev_b32_e32 v4, 24, v129
	scratch_store_dword off, v4, off offset:696 ; 4-byte Folded Spill
	;; [unrolled: 25-line block ×4, first 2 shown]
	scratch_store_dword off, v3, off offset:1096 ; 4-byte Folded Spill
	ds_read_b128 v[86:89], v3 offset:24576
	scratch_store_dword off, v30, off offset:1108 ; 4-byte Folded Spill
	ds_read_b128 v[106:109], v30
	v_xor_b32_sdwa v30, v90, sext(v38) dst_sel:DWORD dst_unused:UNUSED_PAD src0_sel:DWORD src1_sel:WORD_0
	v_sub_u32_e32 v30, v30, v28
	v_sub_u32_e32 v28, v91, v28
	v_lshl_add_u32 v28, v28, 4, v52
	ds_read_b128 v[82:85], v28 offset:8192
	s_waitcnt lgkmcnt(2)
	v_lshrrev_b32_e32 v3, 8, v86
	scratch_store_dword off, v3, off offset:840 ; 4-byte Folded Spill
	v_lshrrev_b32_e32 v3, 16, v86
	scratch_store_dword off, v3, off offset:252 ; 4-byte Folded Spill
	;; [unrolled: 2-line block ×12, first 2 shown]
	v_lshl_add_u32 v3, v24, 4, v25
	v_add_u32_e32 v55, 0x7000, v3
	v_add_u32_e32 v0, v55, v0
	ds_read_b128 v[178:181], v3 offset:28672
	ds_read_b128 v[174:177], v0 offset:4096
	scratch_store_dword off, v0, off offset:1100 ; 4-byte Folded Spill
	v_lshlrev_b32_e32 v30, 4, v30
	v_add_u32_e32 v30, v52, v30
	ds_read_b128 v[74:77], v30 offset:4096
	ds_read_b128 v[62:65], v28 offset:20480
	s_waitcnt lgkmcnt(2)
	v_lshrrev_b32_e32 v0, 16, v174
	scratch_store_dword off, v0, off offset:1000 ; 4-byte Folded Spill
	v_lshrrev_b32_e32 v0, 24, v174
	scratch_store_dword off, v0, off offset:1004 ; 4-byte Folded Spill
	v_lshrrev_b32_e32 v0, 16, v175
	v_accvgpr_write_b32 a251, v0
	v_lshrrev_b32_e32 v0, 24, v175
	v_accvgpr_write_b32 a247, v0
	v_lshrrev_b32_e32 v0, 16, v176
	v_accvgpr_write_b32 a233, v0
	v_lshrrev_b32_e32 v0, 24, v176
	v_accvgpr_write_b32 a230, v0
	v_lshrrev_b32_e32 v0, 16, v177
	v_accvgpr_write_b32 a229, v0
	v_lshrrev_b32_e32 v0, 24, v177
	v_accvgpr_write_b32 a228, v0
	v_sub_u32_e32 v0, v2, v24
	v_lshl_add_u32 v2, v0, 4, v55
	ds_read_b128 v[154:157], v2 offset:24576
	ds_read_b128 v[150:153], v2 offset:28672
	;; [unrolled: 1-line block ×4, first 2 shown]
	v_lshrrev_b32_e32 v3, 8, v178
	s_waitcnt lgkmcnt(3)
	v_lshrrev_b32_e32 v27, 16, v156
	v_accvgpr_write_b32 a227, v27
	v_lshrrev_b32_e32 v27, 24, v156
	v_accvgpr_write_b32 a250, v27
	;; [unrolled: 2-line block ×3, first 2 shown]
	s_waitcnt lgkmcnt(2)
	v_lshrrev_b32_e32 v27, 16, v151
	v_accvgpr_write_b32 a245, v27
	v_lshrrev_b32_e32 v27, 24, v151
	v_accvgpr_write_b32 a248, v27
	;; [unrolled: 2-line block ×7, first 2 shown]
	v_lshrrev_b32_e32 v27, 16, v106
	scratch_store_dword off, v27, off offset:236 ; 4-byte Folded Spill
	v_lshrrev_b32_e32 v27, 24, v106
	scratch_store_dword off, v27, off offset:220 ; 4-byte Folded Spill
	v_lshrrev_b32_e32 v27, 8, v107
	v_accvgpr_write_b32 a238, v27
	v_lshrrev_b32_e32 v27, 16, v107
	scratch_store_dword off, v27, off offset:224 ; 4-byte Folded Spill
	v_lshrrev_b32_e32 v27, 24, v107
	scratch_store_dword off, v27, off offset:228 ; 4-byte Folded Spill
	;; [unrolled: 2-line block ×5, first 2 shown]
	v_lshrrev_b32_e32 v27, 8, v109
	v_accvgpr_write_b32 a254, v27
	v_lshrrev_b32_e32 v27, 16, v109
	scratch_store_dword off, v27, off offset:232 ; 4-byte Folded Spill
	v_lshrrev_b32_e32 v27, 24, v109
	scratch_store_dword off, v27, off offset:208 ; 4-byte Folded Spill
	;; [unrolled: 2-line block ×26, first 2 shown]
	s_waitcnt lgkmcnt(1)
	v_lshrrev_b32_e32 v27, 8, v78
	scratch_store_dword off, v27, off offset:700 ; 4-byte Folded Spill
	v_lshrrev_b32_e32 v27, 16, v78
	scratch_store_dword off, v27, off offset:48 ; 4-byte Folded Spill
	;; [unrolled: 2-line block ×12, first 2 shown]
	s_waitcnt lgkmcnt(0)
	v_lshrrev_b32_e32 v27, 8, v66
	scratch_store_dword off, v27, off offset:816 ; 4-byte Folded Spill
	v_lshrrev_b32_e32 v27, 16, v66
	scratch_store_dword off, v27, off offset:40 ; 4-byte Folded Spill
	;; [unrolled: 2-line block ×26, first 2 shown]
	v_lshrrev_b32_e32 v3, 16, v180
	scratch_store_dword off, v27, off       ; 4-byte Folded Spill
	v_lshrrev_b32_e32 v27, 24, v64
	scratch_store_dword off, v3, off offset:972 ; 4-byte Folded Spill
	v_lshrrev_b32_e32 v3, 24, v180
	scratch_store_dword off, v27, off offset:12 ; 4-byte Folded Spill
	;; [unrolled: 2-line block ×7, first 2 shown]
	ds_read_b128 v[170:173], v2 offset:8192
	ds_read_b128 v[166:169], v2 offset:12288
	;; [unrolled: 1-line block ×4, first 2 shown]
	scratch_store_dword off, v2, off offset:1104 ; 4-byte Folded Spill
	scratch_store_dword off, v30, off offset:1112 ; 4-byte Folded Spill
	;; [unrolled: 1-line block ×5, first 2 shown]
	v_add_u32_e32 v25, v26, v25
	ds_read_b128 v[122:125], v25 offset:28672
	scratch_store_dword off, v25, off offset:1120 ; 4-byte Folded Spill
	ds_read_b128 v[70:73], v28 offset:24576
	scratch_store_dword off, v55, off offset:1128 ; 4-byte Folded Spill
	s_waitcnt lgkmcnt(5)
	v_lshrrev_b32_e32 v0, 16, v170
	s_waitcnt lgkmcnt(1)
	v_lshrrev_b32_e32 v25, 16, v122
	scratch_store_dword off, v25, off offset:320 ; 4-byte Folded Spill
	v_lshrrev_b32_e32 v25, 24, v122
	scratch_store_dword off, v25, off offset:324 ; 4-byte Folded Spill
	;; [unrolled: 2-line block ×7, first 2 shown]
	v_xor_b32_sdwa v25, v90, sext(v56) dst_sel:DWORD dst_unused:UNUSED_PAD src0_sel:DWORD src1_sel:BYTE_0
	v_sub_u32_e32 v25, v25, v24
	v_lshlrev_b32_e32 v25, 4, v25
	v_sub_u32_e32 v24, v91, v24
	v_add_u32_e32 v25, v55, v25
	ds_read_b128 v[114:117], v25 offset:4096
	v_lshl_add_u32 v55, v24, 4, v55
	ds_read_b128 v[98:101], v55 offset:16384
	ds_read_b128 v[90:93], v55 offset:20480
	s_waitcnt lgkmcnt(3)
	v_lshrrev_b32_e32 v27, 8, v70
	v_accvgpr_write_b32 a232, v0
	v_lshrrev_b32_e32 v0, 24, v170
	scratch_store_dword off, v27, off offset:980 ; 4-byte Folded Spill
	v_lshrrev_b32_e32 v27, 16, v70
	v_accvgpr_write_b32 a235, v0
	v_lshrrev_b32_e32 v0, 16, v171
	scratch_store_dword off, v27, off offset:136 ; 4-byte Folded Spill
	;; [unrolled: 4-line block ×4, first 2 shown]
	v_lshrrev_b32_e32 v27, 16, v71
	s_waitcnt lgkmcnt(1)
	v_lshrrev_b32_e32 v38, 16, v100
	ds_read_b128 v[94:97], v55 offset:24576
	ds_read_b128 v[102:105], v55 offset:28672
	v_accvgpr_write_b32 a237, v0
	v_lshrrev_b32_e32 v0, 24, v172
	scratch_store_dword off, v27, off offset:148 ; 4-byte Folded Spill
	v_lshrrev_b32_e32 v27, 24, v71
	scratch_store_dword off, v38, off offset:288 ; 4-byte Folded Spill
	s_waitcnt lgkmcnt(2)
	v_lshrrev_b32_e32 v38, 16, v90
	v_accvgpr_write_b32 a239, v0
	v_lshrrev_b32_e32 v0, 16, v173
	scratch_store_dword off, v27, off offset:172 ; 4-byte Folded Spill
	v_lshrrev_b32_e32 v27, 8, v72
	scratch_store_dword off, v38, off offset:280 ; 4-byte Folded Spill
	v_lshrrev_b32_e32 v38, 16, v91
	v_accvgpr_write_b32 a234, v0
	v_lshrrev_b32_e32 v0, 24, v173
	scratch_store_dword off, v27, off offset:924 ; 4-byte Folded Spill
	v_lshrrev_b32_e32 v27, 16, v72
	ds_read_b128 v[142:145], v55 offset:8192
	ds_read_b128 v[130:133], v55 offset:12288
	scratch_store_dword off, v38, off offset:284 ; 4-byte Folded Spill
	v_lshrrev_b32_e32 v38, 16, v92
	v_accvgpr_write_b32 a231, v0
	v_lshrrev_b32_e32 v0, 16, v166
	scratch_store_dword off, v27, off offset:80 ; 4-byte Folded Spill
	v_lshrrev_b32_e32 v27, 24, v72
	scratch_store_dword off, v25, off offset:1124 ; 4-byte Folded Spill
	;; [unrolled: 2-line block ×3, first 2 shown]
	v_lshrrev_b32_e32 v38, 16, v93
	v_accvgpr_write_b32 a226, v0
	v_lshrrev_b32_e32 v0, 24, v166
	scratch_store_dword off, v27, off offset:88 ; 4-byte Folded Spill
	v_lshrrev_b32_e32 v27, 8, v73
	scratch_store_dword off, v25, off offset:304 ; 4-byte Folded Spill
	;; [unrolled: 2-line block ×3, first 2 shown]
	s_waitcnt lgkmcnt(3)
	v_lshrrev_b32_e32 v38, 16, v94
	v_accvgpr_write_b32 a249, v0
	v_lshrrev_b32_e32 v0, 16, v167
	v_lshrrev_b32_e32 v2, 16, v150
	scratch_store_dword off, v27, off offset:928 ; 4-byte Folded Spill
	v_lshrrev_b32_e32 v27, 16, v73
	scratch_store_dword off, v25, off offset:308 ; 4-byte Folded Spill
	;; [unrolled: 2-line block ×3, first 2 shown]
	v_lshrrev_b32_e32 v38, 16, v95
	v_accvgpr_write_b32 a243, v0
	v_lshrrev_b32_e32 v0, 24, v167
	v_accvgpr_write_b32 a224, v2
	v_lshrrev_b32_e32 v2, 24, v150
	scratch_store_dword off, v27, off offset:104 ; 4-byte Folded Spill
	v_lshrrev_b32_e32 v27, 24, v73
	scratch_store_dword off, v25, off offset:316 ; 4-byte Folded Spill
	v_lshrrev_b32_e32 v25, 16, v116
	scratch_store_dword off, v38, off offset:276 ; 4-byte Folded Spill
	v_lshrrev_b32_e32 v38, 16, v96
	v_lshrrev_b32_e32 v210, 8, v181
	;; [unrolled: 1-line block ×12, first 2 shown]
	v_accvgpr_write_b32 a255, v0
	v_lshrrev_b32_e32 v8, 8, v168
	v_lshrrev_b32_e32 v47, 16, v168
	;; [unrolled: 1-line block ×40, first 2 shown]
	v_accvgpr_write_b32 a236, v2
	v_lshrrev_b32_e32 v2, 8, v151
	v_lshrrev_b32_e32 v207, 8, v152
	v_lshrrev_b32_e32 v206, 8, v153
	scratch_store_dword off, v27, off offset:112 ; 4-byte Folded Spill
	v_lshrrev_b32_e32 v214, 8, v122
	v_lshrrev_b32_e32 v217, 8, v123
	;; [unrolled: 1-line block ×9, first 2 shown]
	scratch_store_dword off, v25, off offset:296 ; 4-byte Folded Spill
	v_lshrrev_b32_e32 v27, 24, v116
	v_lshrrev_b32_e32 v229, 8, v117
	;; [unrolled: 1-line block ×4, first 2 shown]
	s_waitcnt lgkmcnt(1)
	v_lshrrev_b32_e32 v204, 8, v142
	v_lshrrev_b32_e32 v195, 16, v142
	;; [unrolled: 1-line block ×12, first 2 shown]
	s_waitcnt lgkmcnt(0)
	v_lshrrev_b32_e32 v213, 8, v130
	v_lshrrev_b32_e32 v199, 16, v130
	;; [unrolled: 1-line block ×36, first 2 shown]
	scratch_store_dword off, v38, off offset:240 ; 4-byte Folded Spill
	v_lshrrev_b32_e32 v43, 24, v96
	v_lshrrev_b32_e32 v38, 8, v97
	;; [unrolled: 1-line block ×16, first 2 shown]
	scratch_store_dword off, v56, off offset:244 ; 4-byte Folded Spill
	scratch_store_dword off, v55, off offset:1132 ; 4-byte Folded Spill
	; sched_barrier mask(0x00000000)
	v_accvgpr_read_b32 v56, a2
	s_add_i32 s16, s16, -1
	v_add_u32_e32 v55, 0x100, v56
	v_accvgpr_read_b32 v56, a0
	s_max_i32 s16, s16, 1
	v_add_u32_e32 v56, 0x100, v56
	v_accvgpr_write_b32 a159, 0
	v_accvgpr_write_b32 a158, 0
	;; [unrolled: 1-line block ×224, first 2 shown]
.LBB1_11:                               ; =>This Inner Loop Header: Depth=1
	v_lshlrev_b16_e32 v17, 8, v17
	v_lshlrev_b16_e32 v13, 8, v13
	;; [unrolled: 1-line block ×5, first 2 shown]
	v_or_b32_sdwa v17, v170, v17 dst_sel:DWORD dst_unused:UNUSED_PAD src0_sel:BYTE_0 src1_sel:DWORD
	v_or_b32_sdwa v170, v172, v13 dst_sel:DWORD dst_unused:UNUSED_PAD src0_sel:BYTE_0 src1_sel:DWORD
	v_lshlrev_b16_e32 v10, 8, v10
	v_lshlrev_b16_e32 v13, 8, v23
	v_or_b32_sdwa v167, v167, v12 dst_sel:DWORD dst_unused:UNUSED_PAD src0_sel:BYTE_0 src1_sel:DWORD
	v_or_b32_sdwa v168, v168, v8 dst_sel:DWORD dst_unused:UNUSED_PAD src0_sel:BYTE_0 src1_sel:DWORD
	v_lshlrev_b16_e32 v8, 8, v21
	v_lshlrev_b16_e32 v12, 8, v15
	;; [unrolled: 1-line block ×6, first 2 shown]
	v_or_b32_sdwa v148, v148, v37 dst_sel:DWORD dst_unused:UNUSED_PAD src0_sel:BYTE_0 src1_sel:DWORD
	scratch_load_dword v37, off, off offset:1012 ; 4-byte Folded Reload
	v_lshlrev_b16_e32 v19, 8, v19
	v_lshlrev_b16_e32 v16, 8, v16
	v_or_b32_sdwa v166, v166, v10 dst_sel:DWORD dst_unused:UNUSED_PAD src0_sel:BYTE_0 src1_sel:DWORD
	v_or_b32_sdwa v169, v169, v13 dst_sel:DWORD dst_unused:UNUSED_PAD src0_sel:BYTE_0 src1_sel:DWORD
	v_lshlrev_b16_e32 v10, 8, v18
	v_lshlrev_b16_e32 v13, 8, v14
	v_or_b32_sdwa v14, v163, v8 dst_sel:DWORD dst_unused:UNUSED_PAD src0_sel:BYTE_0 src1_sel:DWORD
	v_or_b32_sdwa v18, v165, v12 dst_sel:DWORD dst_unused:UNUSED_PAD src0_sel:BYTE_0 src1_sel:DWORD
	;; [unrolled: 1-line block ×4, first 2 shown]
	v_lshlrev_b16_e32 v2, 8, v2
	v_lshlrev_b16_e32 v3, 8, v183
	;; [unrolled: 1-line block ×3, first 2 shown]
	v_or_b32_sdwa v48, v146, v48 dst_sel:DWORD dst_unused:UNUSED_PAD src0_sel:BYTE_0 src1_sel:DWORD
	v_or_b32_sdwa v36, v149, v36 dst_sel:DWORD dst_unused:UNUSED_PAD src0_sel:BYTE_0 src1_sel:DWORD
	scratch_load_dword v146, off, off offset:1008 ; 4-byte Folded Reload
	scratch_load_dword v149, off, off offset:1016 ; 4-byte Folded Reload
	v_or_b32_sdwa v19, v171, v19 dst_sel:DWORD dst_unused:UNUSED_PAD src0_sel:BYTE_0 src1_sel:DWORD
	v_or_b32_sdwa v16, v173, v16 dst_sel:DWORD dst_unused:UNUSED_PAD src0_sel:BYTE_0 src1_sel:DWORD
	;; [unrolled: 1-line block ×5, first 2 shown]
	scratch_load_dword v2, off, off offset:868 ; 4-byte Folded Reload
	scratch_load_dword v3, off, off offset:860 ; 4-byte Folded Reload
	;; [unrolled: 1-line block ×3, first 2 shown]
	v_lshlrev_b16_e32 v5, 8, v5
	v_lshlrev_b16_e32 v49, 8, v49
	;; [unrolled: 1-line block ×3, first 2 shown]
	v_or_b32_sdwa v15, v162, v10 dst_sel:DWORD dst_unused:UNUSED_PAD src0_sel:BYTE_0 src1_sel:DWORD
	v_or_b32_sdwa v162, v155, v5 dst_sel:DWORD dst_unused:UNUSED_PAD src0_sel:BYTE_0 src1_sel:DWORD
	v_lshlrev_b16_e32 v5, 8, v207
	v_or_b32_sdwa v49, v147, v49 dst_sel:DWORD dst_unused:UNUSED_PAD src0_sel:BYTE_0 src1_sel:DWORD
	v_lshlrev_b16_e32 v147, 8, v210
	v_or_b32_sdwa v20, v176, v20 dst_sel:DWORD dst_unused:UNUSED_PAD src0_sel:BYTE_0 src1_sel:DWORD
	v_or_b32_sdwa v176, v152, v5 dst_sel:DWORD dst_unused:UNUSED_PAD src0_sel:BYTE_0 src1_sel:DWORD
	scratch_load_dword v5, off, off offset:856 ; 4-byte Folded Reload
	v_lshlrev_b16_e32 v7, 8, v7
	v_or_b32_sdwa v161, v161, v7 dst_sel:DWORD dst_unused:UNUSED_PAD src0_sel:BYTE_0 src1_sel:DWORD
	scratch_load_dword v7, off, off offset:916 ; 4-byte Folded Reload
	v_lshlrev_b16_e32 v6, 8, v6
	v_or_b32_sdwa v160, v160, v6 dst_sel:DWORD dst_unused:UNUSED_PAD src0_sel:BYTE_0 src1_sel:DWORD
	v_lshlrev_b16_e32 v6, 8, v29
	v_or_b32_sdwa v21, v164, v13 dst_sel:DWORD dst_unused:UNUSED_PAD src0_sel:BYTE_0 src1_sel:DWORD
	;; [unrolled: 2-line block ×3, first 2 shown]
	v_or_b32_sdwa v158, v158, v9 dst_sel:DWORD dst_unused:UNUSED_PAD src0_sel:BYTE_0 src1_sel:DWORD
	v_lshlrev_b16_e32 v8, 8, v11
	scratch_load_dword v11, off, off offset:940 ; 4-byte Folded Reload
	v_lshlrev_b16_e32 v22, 8, v22
	v_or_b32_sdwa v159, v159, v8 dst_sel:DWORD dst_unused:UNUSED_PAD src0_sel:BYTE_0 src1_sel:DWORD
	v_or_b32_sdwa v177, v177, v22 dst_sel:DWORD dst_unused:UNUSED_PAD src0_sel:BYTE_0 src1_sel:DWORD
	scratch_load_dword v29, off, off offset:800 ; 4-byte Folded Reload
	v_lshlrev_b16_e32 v0, 8, v0
	v_or_b32_sdwa v0, v46, v0 dst_sel:WORD_1 dst_unused:UNUSED_PAD src0_sel:BYTE_0 src1_sel:DWORD
	v_lshlrev_b16_e32 v30, 8, v30
	v_or_b32_sdwa v157, v159, v0 dst_sel:DWORD dst_unused:UNUSED_PAD src0_sel:WORD_0 src1_sel:DWORD
	v_lshlrev_b16_e32 v0, 8, v54
	v_or_b32_sdwa v0, v51, v0 dst_sel:WORD_1 dst_unused:UNUSED_PAD src0_sel:BYTE_0 src1_sel:DWORD
	v_lshlrev_b16_e32 v24, 8, v24
	s_waitcnt vmcnt(9)
	v_lshlrev_b16_e32 v37, 8, v37
	v_or_b32_sdwa v37, v179, v37 dst_sel:DWORD dst_unused:UNUSED_PAD src0_sel:BYTE_0 src1_sel:DWORD
	v_lshlrev_b16_e32 v179, 8, v205
	v_or_b32_sdwa v174, v174, v179 dst_sel:DWORD dst_unused:UNUSED_PAD src0_sel:BYTE_0 src1_sel:DWORD
	s_waitcnt vmcnt(8)
	v_lshlrev_b16_e32 v146, 8, v146
	s_waitcnt vmcnt(7)
	v_lshlrev_b16_e32 v149, 8, v149
	v_or_b32_sdwa v146, v178, v146 dst_sel:DWORD dst_unused:UNUSED_PAD src0_sel:BYTE_0 src1_sel:DWORD
	v_or_b32_sdwa v178, v181, v147 dst_sel:DWORD dst_unused:UNUSED_PAD src0_sel:BYTE_0 src1_sel:DWORD
	v_or_b32_sdwa v149, v180, v149 dst_sel:DWORD dst_unused:UNUSED_PAD src0_sel:BYTE_0 src1_sel:DWORD
	v_lshlrev_b16_e32 v147, 8, v1
	v_or_b32_sdwa v175, v175, v147 dst_sel:DWORD dst_unused:UNUSED_PAD src0_sel:BYTE_0 src1_sel:DWORD
	s_waitcnt vmcnt(6)
	v_lshlrev_b16_e32 v2, 8, v2
	s_waitcnt vmcnt(5)
	v_lshlrev_b16_e32 v3, 8, v3
	;; [unrolled: 2-line block ×3, first 2 shown]
	v_or_b32_sdwa v179, v139, v2 dst_sel:DWORD dst_unused:UNUSED_PAD src0_sel:BYTE_0 src1_sel:DWORD
	v_or_b32_sdwa v180, v138, v3 dst_sel:DWORD dst_unused:UNUSED_PAD src0_sel:BYTE_0 src1_sel:DWORD
	;; [unrolled: 1-line block ×3, first 2 shown]
	scratch_load_dword v2, off, off offset:888 ; 4-byte Folded Reload
	scratch_load_dword v3, off, off offset:876 ; 4-byte Folded Reload
	;; [unrolled: 1-line block ×3, first 2 shown]
	v_accvgpr_read_b32 v1, a247
	s_waitcnt vmcnt(6)
	v_lshlrev_b16_e32 v5, 8, v5
	v_or_b32_sdwa v183, v140, v5 dst_sel:DWORD dst_unused:UNUSED_PAD src0_sel:BYTE_0 src1_sel:DWORD
	scratch_load_dword v5, off, off offset:872 ; 4-byte Folded Reload
	s_waitcnt vmcnt(6)
	v_lshlrev_b16_e32 v9, 8, v7
	scratch_load_dword v7, off, off offset:912 ; 4-byte Folded Reload
	s_waitcnt vmcnt(6)
	v_lshlrev_b16_e32 v22, 8, v11
	;; [unrolled: 3-line block ×3, first 2 shown]
	s_waitcnt vmcnt(4)
	v_lshlrev_b16_e32 v3, 8, v3
	s_waitcnt vmcnt(3)
	v_lshlrev_b16_e32 v4, 8, v4
	v_or_b32_sdwa v205, v135, v2 dst_sel:DWORD dst_unused:UNUSED_PAD src0_sel:BYTE_0 src1_sel:DWORD
	v_or_b32_sdwa v206, v134, v3 dst_sel:DWORD dst_unused:UNUSED_PAD src0_sel:BYTE_0 src1_sel:DWORD
	;; [unrolled: 1-line block ×3, first 2 shown]
	scratch_load_dword v2, off, off offset:892 ; 4-byte Folded Reload
	scratch_load_dword v3, off, off offset:880 ; 4-byte Folded Reload
	;; [unrolled: 1-line block ×3, first 2 shown]
	s_waitcnt vmcnt(5)
	v_lshlrev_b16_e32 v5, 8, v5
	v_or_b32_sdwa v210, v136, v5 dst_sel:DWORD dst_unused:UNUSED_PAD src0_sel:BYTE_0 src1_sel:DWORD
	s_waitcnt vmcnt(4)
	v_lshlrev_b16_e32 v10, 8, v7
	s_waitcnt vmcnt(3)
	v_lshlrev_b16_e32 v23, 8, v11
	;; [unrolled: 2-line block ×5, first 2 shown]
	scratch_load_dword v4, off, off offset:896 ; 4-byte Folded Reload
	v_or_b32_sdwa v13, v126, v3 dst_sel:DWORD dst_unused:UNUSED_PAD src0_sel:BYTE_0 src1_sel:DWORD
	s_waitcnt vmcnt(0)
	v_lshlrev_b16_e32 v6, 8, v4
	v_or_b32_sdwa v4, v127, v2 dst_sel:DWORD dst_unused:UNUSED_PAD src0_sel:BYTE_0 src1_sel:DWORD
	v_or_b32_sdwa v2, v129, v5 dst_sel:DWORD dst_unused:UNUSED_PAD src0_sel:BYTE_0 src1_sel:DWORD
	scratch_load_dword v5, off, off offset:908 ; 4-byte Folded Reload
	v_or_b32_sdwa v3, v128, v6 dst_sel:DWORD dst_unused:UNUSED_PAD src0_sel:BYTE_0 src1_sel:DWORD
	scratch_load_dword v6, off, off offset:904 ; 4-byte Folded Reload
	s_waitcnt vmcnt(1)
	v_lshlrev_b16_e32 v5, 8, v5
	v_or_b32_sdwa v8, v119, v5 dst_sel:DWORD dst_unused:UNUSED_PAD src0_sel:BYTE_0 src1_sel:DWORD
	s_waitcnt vmcnt(0)
	v_lshlrev_b16_e32 v6, 8, v6
	v_or_b32_sdwa v5, v121, v9 dst_sel:DWORD dst_unused:UNUSED_PAD src0_sel:BYTE_0 src1_sel:DWORD
	scratch_load_dword v9, off, off offset:932 ; 4-byte Folded Reload
	v_or_b32_sdwa v7, v118, v6 dst_sel:DWORD dst_unused:UNUSED_PAD src0_sel:BYTE_0 src1_sel:DWORD
	v_or_b32_sdwa v6, v120, v10 dst_sel:DWORD dst_unused:UNUSED_PAD src0_sel:BYTE_0 src1_sel:DWORD
	scratch_load_dword v10, off, off offset:920 ; 4-byte Folded Reload
	v_or_b32_sdwa v121, v161, v0 dst_sel:DWORD dst_unused:UNUSED_PAD src0_sel:WORD_0 src1_sel:DWORD
	v_lshlrev_b16_e32 v0, 8, v59
	v_or_b32_sdwa v0, v40, v0 dst_sel:WORD_1 dst_unused:UNUSED_PAD src0_sel:BYTE_0 src1_sel:DWORD
	s_waitcnt vmcnt(1)
	v_lshlrev_b16_e32 v9, 8, v9
	v_or_b32_sdwa v11, v111, v9 dst_sel:DWORD dst_unused:UNUSED_PAD src0_sel:BYTE_0 src1_sel:DWORD
	v_or_b32_sdwa v9, v113, v22 dst_sel:DWORD dst_unused:UNUSED_PAD src0_sel:BYTE_0 src1_sel:DWORD
	s_waitcnt vmcnt(0)
	v_lshlrev_b16_e32 v10, 8, v10
	scratch_load_dword v22, off, off offset:836 ; 4-byte Folded Reload
	v_or_b32_sdwa v12, v110, v10 dst_sel:DWORD dst_unused:UNUSED_PAD src0_sel:BYTE_0 src1_sel:DWORD
	v_or_b32_sdwa v10, v112, v23 dst_sel:DWORD dst_unused:UNUSED_PAD src0_sel:BYTE_0 src1_sel:DWORD
	scratch_load_dword v23, off, off offset:832 ; 4-byte Folded Reload
	v_or_b32_sdwa v119, v162, v0 dst_sel:DWORD dst_unused:UNUSED_PAD src0_sel:WORD_0 src1_sel:DWORD
	v_lshlrev_b16_e32 v0, 8, v224
	s_waitcnt vmcnt(1)
	v_lshlrev_b16_e32 v22, 8, v22
	s_waitcnt vmcnt(0)
	v_or_b32_sdwa v22, v23, v22 dst_sel:WORD_1 dst_unused:UNUSED_PAD src0_sel:BYTE_0 src1_sel:DWORD
	scratch_load_dword v23, off, off offset:808 ; 4-byte Folded Reload
	s_waitcnt vmcnt(0)
	v_lshlrev_b16_e32 v23, 8, v23
	v_or_b32_sdwa v110, v29, v23 dst_sel:WORD_1 dst_unused:UNUSED_PAD src0_sel:BYTE_0 src1_sel:DWORD
	scratch_load_dword v29, off, off offset:976 ; 4-byte Folded Reload
	v_or_b32_sdwa v23, v49, v22 dst_sel:DWORD dst_unused:UNUSED_PAD src0_sel:WORD_0 src1_sel:DWORD
	v_or_b32_sdwa v22, v48, v110 dst_sel:DWORD dst_unused:UNUSED_PAD src0_sel:WORD_0 src1_sel:DWORD
	s_waitcnt vmcnt(0)
	v_lshlrev_b16_e32 v48, 8, v29
	scratch_load_dword v29, off, off offset:952 ; 4-byte Folded Reload
	s_waitcnt vmcnt(0)
	v_or_b32_sdwa v48, v29, v48 dst_sel:WORD_1 dst_unused:UNUSED_PAD src0_sel:BYTE_0 src1_sel:DWORD
	scratch_load_dword v29, off, off offset:948 ; 4-byte Folded Reload
	v_or_b32_sdwa v147, v37, v48 dst_sel:DWORD dst_unused:UNUSED_PAD src0_sel:WORD_0 src1_sel:DWORD
	s_waitcnt vmcnt(0)
	v_lshlrev_b16_e32 v49, 8, v29
	scratch_load_dword v29, off, off offset:944 ; 4-byte Folded Reload
	s_waitcnt vmcnt(0)
	v_or_b32_sdwa v49, v29, v49 dst_sel:WORD_1 dst_unused:UNUSED_PAD src0_sel:BYTE_0 src1_sel:DWORD
	scratch_load_dword v29, off, off offset:812 ; 4-byte Folded Reload
	;; [unrolled: 7-line block ×5, first 2 shown]
	v_or_b32_sdwa v141, v178, v48 dst_sel:DWORD dst_unused:UNUSED_PAD src0_sel:WORD_0 src1_sel:DWORD
	v_lshlrev_b16_e32 v48, 8, v1
	v_accvgpr_read_b32 v1, a251
	v_or_b32_sdwa v48, v1, v48 dst_sel:WORD_1 dst_unused:UNUSED_PAD src0_sel:BYTE_0 src1_sel:DWORD
	scratch_load_dword v1, off, off offset:1004 ; 4-byte Folded Reload
	s_waitcnt vmcnt(1)
	v_lshlrev_b16_e32 v49, 8, v29
	scratch_load_dword v29, off, off offset:972 ; 4-byte Folded Reload
	s_waitcnt vmcnt(0)
	v_or_b32_sdwa v49, v29, v49 dst_sel:WORD_1 dst_unused:UNUSED_PAD src0_sel:BYTE_0 src1_sel:DWORD
	s_nop 0
	v_or_b32_sdwa v140, v149, v49 dst_sel:DWORD dst_unused:UNUSED_PAD src0_sel:WORD_0 src1_sel:DWORD
	v_lshlrev_b16_e32 v49, 8, v1
	scratch_load_dword v1, off, off offset:1000 ; 4-byte Folded Reload
	v_or_b32_sdwa v149, v175, v48 dst_sel:DWORD dst_unused:UNUSED_PAD src0_sel:WORD_0 src1_sel:DWORD
	v_accvgpr_read_b32 v29, a232
	s_waitcnt vmcnt(0)
	v_or_b32_sdwa v49, v1, v49 dst_sel:WORD_1 dst_unused:UNUSED_PAD src0_sel:BYTE_0 src1_sel:DWORD
	v_accvgpr_read_b32 v1, a228
	v_lshlrev_b16_e32 v48, 8, v1
	v_accvgpr_read_b32 v1, a229
	v_or_b32_sdwa v48, v1, v48 dst_sel:WORD_1 dst_unused:UNUSED_PAD src0_sel:BYTE_0 src1_sel:DWORD
	v_accvgpr_read_b32 v1, a230
	v_or_b32_sdwa v148, v174, v49 dst_sel:DWORD dst_unused:UNUSED_PAD src0_sel:WORD_0 src1_sel:DWORD
	v_lshlrev_b16_e32 v49, 8, v1
	v_accvgpr_read_b32 v1, a233
	v_or_b32_sdwa v49, v1, v49 dst_sel:WORD_1 dst_unused:UNUSED_PAD src0_sel:BYTE_0 src1_sel:DWORD
	v_accvgpr_read_b32 v1, a242
	v_or_b32_sdwa v138, v20, v49 dst_sel:DWORD dst_unused:UNUSED_PAD src0_sel:WORD_0 src1_sel:DWORD
	v_lshlrev_b16_e32 v20, 8, v1
	v_accvgpr_read_b32 v1, a244
	v_or_b32_sdwa v20, v1, v20 dst_sel:WORD_1 dst_unused:UNUSED_PAD src0_sel:BYTE_0 src1_sel:DWORD
	v_accvgpr_read_b32 v1, a235
	v_lshlrev_b16_e32 v1, 8, v1
	v_or_b32_sdwa v1, v29, v1 dst_sel:WORD_1 dst_unused:UNUSED_PAD src0_sel:BYTE_0 src1_sel:DWORD
	v_or_b32_sdwa v151, v19, v20 dst_sel:DWORD dst_unused:UNUSED_PAD src0_sel:WORD_0 src1_sel:DWORD
	v_or_b32_sdwa v150, v17, v1 dst_sel:DWORD dst_unused:UNUSED_PAD src0_sel:WORD_0 src1_sel:DWORD
	v_accvgpr_read_b32 v1, a231
	v_lshlrev_b16_e32 v1, 8, v1
	v_accvgpr_read_b32 v17, a234
	v_or_b32_sdwa v1, v17, v1 dst_sel:WORD_1 dst_unused:UNUSED_PAD src0_sel:BYTE_0 src1_sel:DWORD
	v_accvgpr_read_b32 v17, a239
	v_or_b32_sdwa v135, v16, v1 dst_sel:DWORD dst_unused:UNUSED_PAD src0_sel:WORD_0 src1_sel:DWORD
	v_accvgpr_read_b32 v1, a255
	v_lshlrev_b16_e32 v1, 8, v1
	v_accvgpr_read_b32 v16, a243
	v_or_b32_sdwa v1, v16, v1 dst_sel:WORD_1 dst_unused:UNUSED_PAD src0_sel:BYTE_0 src1_sel:DWORD
	v_lshlrev_b16_e32 v17, 8, v17
	v_or_b32_sdwa v153, v167, v1 dst_sel:DWORD dst_unused:UNUSED_PAD src0_sel:WORD_0 src1_sel:DWORD
	v_lshlrev_b16_e32 v1, 8, v225
	v_or_b32_sdwa v1, v189, v1 dst_sel:WORD_1 dst_unused:UNUSED_PAD src0_sel:BYTE_0 src1_sel:DWORD
	v_accvgpr_read_b32 v19, a237
	v_or_b32_sdwa v129, v169, v1 dst_sel:DWORD dst_unused:UNUSED_PAD src0_sel:WORD_0 src1_sel:DWORD
	v_lshlrev_b16_e32 v1, 8, v61
	v_or_b32_sdwa v1, v191, v1 dst_sel:WORD_1 dst_unused:UNUSED_PAD src0_sel:BYTE_0 src1_sel:DWORD
	v_or_b32_sdwa v17, v19, v17 dst_sel:WORD_1 dst_unused:UNUSED_PAD src0_sel:BYTE_0 src1_sel:DWORD
	v_or_b32_sdwa v155, v14, v1 dst_sel:DWORD dst_unused:UNUSED_PAD src0_sel:WORD_0 src1_sel:DWORD
	v_lshlrev_b16_e32 v1, 8, v35
	v_or_b32_sdwa v1, v33, v1 dst_sel:WORD_1 dst_unused:UNUSED_PAD src0_sel:BYTE_0 src1_sel:DWORD
	v_lshlrev_b16_e32 v14, 8, v60
	v_or_b32_sdwa v127, v18, v1 dst_sel:DWORD dst_unused:UNUSED_PAD src0_sel:WORD_0 src1_sel:DWORD
	v_lshlrev_b16_e32 v1, 8, v50
	v_or_b32_sdwa v1, v45, v1 dst_sel:WORD_1 dst_unused:UNUSED_PAD src0_sel:BYTE_0 src1_sel:DWORD
	v_or_b32_sdwa v14, v226, v14 dst_sel:WORD_1 dst_unused:UNUSED_PAD src0_sel:BYTE_0 src1_sel:DWORD
	v_or_b32_sdwa v156, v158, v1 dst_sel:DWORD dst_unused:UNUSED_PAD src0_sel:WORD_0 src1_sel:DWORD
	v_lshlrev_b16_e32 v1, 8, v190
	v_or_b32_sdwa v1, v44, v1 dst_sel:WORD_1 dst_unused:UNUSED_PAD src0_sel:BYTE_0 src1_sel:DWORD
	v_or_b32_sdwa v126, v21, v14 dst_sel:DWORD dst_unused:UNUSED_PAD src0_sel:WORD_0 src1_sel:DWORD
	v_or_b32_sdwa v120, v160, v1 dst_sel:DWORD dst_unused:UNUSED_PAD src0_sel:WORD_0 src1_sel:DWORD
	v_lshlrev_b16_e32 v1, 8, v41
	v_or_b32_sdwa v1, v223, v1 dst_sel:WORD_1 dst_unused:UNUSED_PAD src0_sel:BYTE_0 src1_sel:DWORD
	v_accvgpr_read_b32 v14, a227
	v_or_b32_sdwa v118, v163, v1 dst_sel:DWORD dst_unused:UNUSED_PAD src0_sel:WORD_0 src1_sel:DWORD
	v_accvgpr_read_b32 v1, a241
	v_or_b32_sdwa v0, v1, v0 dst_sel:WORD_1 dst_unused:UNUSED_PAD src0_sel:BYTE_0 src1_sel:DWORD
	v_accvgpr_read_b32 v1, a250
	v_lshlrev_b16_e32 v1, 8, v1
	v_or_b32_sdwa v1, v14, v1 dst_sel:WORD_1 dst_unused:UNUSED_PAD src0_sel:BYTE_0 src1_sel:DWORD
	v_or_b32_sdwa v111, v164, v0 dst_sel:DWORD dst_unused:UNUSED_PAD src0_sel:WORD_0 src1_sel:DWORD
	v_accvgpr_read_b32 v0, a248
	v_or_b32_sdwa v110, v165, v1 dst_sel:DWORD dst_unused:UNUSED_PAD src0_sel:WORD_0 src1_sel:DWORD
	v_lshlrev_b16_e32 v0, 8, v0
	v_accvgpr_read_b32 v1, a245
	v_or_b32_sdwa v0, v1, v0 dst_sel:WORD_1 dst_unused:UNUSED_PAD src0_sel:BYTE_0 src1_sel:DWORD
	v_accvgpr_read_b32 v1, a236
	v_lshlrev_b16_e32 v1, 8, v1
	v_accvgpr_read_b32 v14, a224
	v_or_b32_sdwa v1, v14, v1 dst_sel:WORD_1 dst_unused:UNUSED_PAD src0_sel:BYTE_0 src1_sel:DWORD
	v_or_b32_sdwa v113, v171, v0 dst_sel:DWORD dst_unused:UNUSED_PAD src0_sel:WORD_0 src1_sel:DWORD
	v_accvgpr_read_b32 v0, a240
	v_or_b32_sdwa v112, v172, v1 dst_sel:DWORD dst_unused:UNUSED_PAD src0_sel:WORD_0 src1_sel:DWORD
	v_lshlrev_b16_e32 v0, 8, v0
	v_accvgpr_read_b32 v1, a252
	v_or_b32_sdwa v0, v1, v0 dst_sel:WORD_1 dst_unused:UNUSED_PAD src0_sel:BYTE_0 src1_sel:DWORD
	scratch_load_dword v1, off, off offset:1048 ; 4-byte Folded Reload
	scratch_load_dword v14, off, off offset:496 ; 4-byte Folded Reload
	v_accvgpr_read_b32 v16, a249
	v_or_b32_sdwa v134, v170, v17 dst_sel:DWORD dst_unused:UNUSED_PAD src0_sel:WORD_0 src1_sel:DWORD
	v_lshlrev_b16_e32 v16, 8, v16
	v_accvgpr_read_b32 v17, a226
	v_or_b32_sdwa v16, v17, v16 dst_sel:WORD_1 dst_unused:UNUSED_PAD src0_sel:BYTE_0 src1_sel:DWORD
	v_or_b32_sdwa v139, v177, v48 dst_sel:DWORD dst_unused:UNUSED_PAD src0_sel:WORD_0 src1_sel:DWORD
	v_or_b32_sdwa v152, v166, v16 dst_sel:DWORD dst_unused:UNUSED_PAD src0_sel:WORD_0 src1_sel:DWORD
	v_lshlrev_b16_e32 v16, 8, v34
	v_or_b32_sdwa v16, v47, v16 dst_sel:WORD_1 dst_unused:UNUSED_PAD src0_sel:BYTE_0 src1_sel:DWORD
	s_waitcnt lgkmcnt(0)
	v_or_b32_sdwa v128, v168, v16 dst_sel:DWORD dst_unused:UNUSED_PAD src0_sel:WORD_0 src1_sel:DWORD
	v_lshlrev_b16_e32 v16, 8, v53
	v_or_b32_sdwa v16, v32, v16 dst_sel:WORD_1 dst_unused:UNUSED_PAD src0_sel:BYTE_0 src1_sel:DWORD
	s_barrier
	v_or_b32_sdwa v154, v15, v16 dst_sel:DWORD dst_unused:UNUSED_PAD src0_sel:WORD_0 src1_sel:DWORD
	v_or_b32_sdwa v137, v173, v0 dst_sel:DWORD dst_unused:UNUSED_PAD src0_sel:WORD_0 src1_sel:DWORD
	scratch_load_dword v0, off, off offset:752 ; 4-byte Folded Reload
	v_accvgpr_read_b32 v21, a131
	v_accvgpr_read_b32 v20, a130
	;; [unrolled: 1-line block ×4, first 2 shown]
	scratch_load_dword v49, off, off offset:1024 ; 4-byte Folded Reload
	scratch_load_dwordx4 v[32:35], off, off offset:532 ; 16-byte Folded Reload
	scratch_load_dword v29, off, off offset:212 ; 4-byte Folded Reload
	s_waitcnt vmcnt(4)
	v_add_u32_e32 v48, v1, v14
	scratch_load_dwordx4 v[14:17], off, off offset:564 ; 16-byte Folded Reload
	v_accvgpr_read_b32 v1, a253
	v_lshlrev_b16_e32 v1, 8, v1
	s_waitcnt vmcnt(4)
	v_lshlrev_b16_e32 v0, 8, v0
	s_waitcnt vmcnt(0)
	ds_write_b128 v48, v[14:17]
	buffer_load_dwordx4 v[14:17], v56, s[0:3], 0 offen
	v_mfma_f32_16x16x32_fp8_fp8 a[136:139], v[22:23], v[156:157], a[136:139]
	v_add_u32_e32 v48, v48, v49
	v_add_u32_e32 v49, s23, v56
	s_waitcnt vmcnt(0)
	scratch_store_dwordx4 off, v[14:17], off offset:564 ; 16-byte Folded Spill
	s_nop 1
	v_accvgpr_read_b32 v14, a225
	v_or_b32_sdwa v1, v14, v1 dst_sel:WORD_1 dst_unused:UNUSED_PAD src0_sel:BYTE_0 src1_sel:DWORD
	scratch_load_dword v14, off, off offset:732 ; 4-byte Folded Reload
	v_or_b32_sdwa v136, v176, v1 dst_sel:DWORD dst_unused:UNUSED_PAD src0_sel:WORD_0 src1_sel:DWORD
	scratch_load_dword v1, off, off offset:748 ; 4-byte Folded Reload
	v_accvgpr_read_b32 v17, a135
	v_accvgpr_read_b32 v16, a134
	;; [unrolled: 1-line block ×3, first 2 shown]
	v_mfma_f32_16x16x32_fp8_fp8 a[128:131], v[36:37], v[120:121], a[136:139]
	s_waitcnt vmcnt(0)
	v_or_b32_sdwa v0, v1, v0 dst_sel:WORD_1 dst_unused:UNUSED_PAD src0_sel:BYTE_0 src1_sel:DWORD
	scratch_load_dword v1, off, off offset:744 ; 4-byte Folded Reload
	s_waitcnt vmcnt(0)
	v_lshlrev_b16_e32 v1, 8, v1
	v_or_b32_sdwa v14, v14, v1 dst_sel:WORD_1 dst_unused:UNUSED_PAD src0_sel:BYTE_0 src1_sel:DWORD
	v_or_b32_sdwa v1, v179, v0 dst_sel:DWORD dst_unused:UNUSED_PAD src0_sel:WORD_0 src1_sel:DWORD
	v_or_b32_sdwa v0, v180, v14 dst_sel:DWORD dst_unused:UNUSED_PAD src0_sel:WORD_0 src1_sel:DWORD
	v_accvgpr_read_b32 v14, a132
	v_accvgpr_write_b32 a139, v17
	v_accvgpr_write_b32 a138, v16
	;; [unrolled: 1-line block ×4, first 2 shown]
	scratch_load_dwordx4 v[14:17], off, off offset:548 ; 16-byte Folded Reload
	s_waitcnt vmcnt(0)
	ds_write_b128 v48, v[14:17]
	buffer_load_dwordx4 v[14:17], v49, s[0:3], 0 offen
	v_mfma_f32_16x16x32_fp8_fp8 a[140:143], v[22:23], v[154:155], a[140:143]
	v_add_u32_e32 v49, s23, v49
	v_add_u32_e32 v61, s23, v49
	s_waitcnt vmcnt(0)
	scratch_store_dwordx4 off, v[14:17], off offset:548 ; 16-byte Folded Spill
	scratch_load_dword v14, off, off offset:728 ; 4-byte Folded Reload
	s_nop 0
	scratch_load_dword v15, off, off offset:724 ; 4-byte Folded Reload
	v_mfma_f32_16x16x32_fp8_fp8 a[156:159], v[22:23], v[146:147], a[156:159]
	scratch_load_dword v16, off, off offset:712 ; 4-byte Folded Reload
	v_accvgpr_read_b32 v17, a99
	s_waitcnt vmcnt(2)
	v_lshlrev_b16_e32 v14, 8, v14
	v_mfma_f32_16x16x32_fp8_fp8 a[152:155], v[22:23], v[148:149], a[152:155]
	s_waitcnt vmcnt(1)
	v_or_b32_sdwa v14, v15, v14 dst_sel:WORD_1 dst_unused:UNUSED_PAD src0_sel:BYTE_0 src1_sel:DWORD
	scratch_load_dword v15, off, off offset:716 ; 4-byte Folded Reload
	s_waitcnt vmcnt(0)
	v_lshlrev_b16_e32 v15, 8, v15
	v_mfma_f32_16x16x32_fp8_fp8 a[228:231], v[22:23], v[150:151], a[148:151]
	v_or_b32_sdwa v15, v16, v15 dst_sel:WORD_1 dst_unused:UNUSED_PAD src0_sel:BYTE_0 src1_sel:DWORD
	v_accvgpr_read_b32 v16, a98
	v_mfma_f32_16x16x32_fp8_fp8 a[232:235], v[22:23], v[152:153], a[144:147]
	v_mfma_f32_16x16x32_fp8_fp8 a[132:135], v[36:37], v[126:127], a[140:143]
	s_nop 2
	v_accvgpr_write_b32 a143, v21
	v_accvgpr_write_b32 a142, v20
	;; [unrolled: 1-line block ×4, first 2 shown]
	v_mfma_f32_16x16x32_fp8_fp8 a[144:147], v[36:37], v[140:141], a[156:159]
	v_accvgpr_read_b32 v21, a95
	v_accvgpr_read_b32 v20, a94
	;; [unrolled: 1-line block ×3, first 2 shown]
	v_mfma_f32_16x16x32_fp8_fp8 a[148:151], v[36:37], v[138:139], a[152:155]
	v_accvgpr_read_b32 v18, a92
	v_mfma_f32_16x16x32_fp8_fp8 a[152:155], v[36:37], v[134:135], a[228:231]
	v_mfma_f32_16x16x32_fp8_fp8 a[156:159], v[36:37], v[128:129], a[232:235]
	;; [unrolled: 1-line block ×4, first 2 shown]
	v_or_b32_sdwa v23, v181, v14 dst_sel:DWORD dst_unused:UNUSED_PAD src0_sel:WORD_0 src1_sel:DWORD
	v_or_b32_sdwa v22, v183, v15 dst_sel:DWORD dst_unused:UNUSED_PAD src0_sel:WORD_0 src1_sel:DWORD
	v_accvgpr_read_b32 v15, a97
	v_mfma_f32_16x16x32_fp8_fp8 a[136:139], v[36:37], v[110:111], a[136:139]
	v_accvgpr_read_b32 v14, a96
	v_mfma_f32_16x16x32_fp8_fp8 a[140:143], v[36:37], v[136:137], a[140:143]
	scratch_load_dword v36, off, off offset:1028 ; 4-byte Folded Reload
	s_waitcnt vmcnt(0)
	v_add_u32_e32 v48, v48, v36
	ds_write_b128 v48, v[32:35]
	v_mfma_f32_16x16x32_fp8_fp8 a[88:91], v[0:1], v[146:147], a[88:91]
	scratch_load_dwordx4 v[32:35], off, off offset:516 ; 16-byte Folded Reload
	v_mfma_f32_16x16x32_fp8_fp8 a[228:231], v[0:1], v[148:149], a[84:87]
	v_mfma_f32_16x16x32_fp8_fp8 a[116:119], v[0:1], v[150:151], a[116:119]
	;; [unrolled: 1-line block ×7, first 2 shown]
	s_nop 1
	v_accvgpr_write_b32 a119, v21
	v_accvgpr_write_b32 a118, v20
	;; [unrolled: 1-line block ×8, first 2 shown]
	v_mfma_f32_16x16x32_fp8_fp8 a[100:103], v[0:1], v[154:155], a[100:103]
	buffer_load_dwordx4 v[14:17], v49, s[0:3], 0 offen
	v_accvgpr_read_b32 v21, a47
	v_accvgpr_read_b32 v20, a46
	v_mfma_f32_16x16x32_fp8_fp8 a[112:115], v[0:1], v[156:157], a[112:115]
	v_accvgpr_read_b32 v19, a45
	v_accvgpr_read_b32 v18, a44
	s_waitcnt vmcnt(0)
	scratch_store_dwordx4 off, v[14:17], off offset:532 ; 16-byte Folded Spill
	v_mfma_f32_16x16x32_fp8_fp8 a[116:119], v[0:1], v[118:119], a[116:119]
	scratch_load_dword v14, off, off offset:756 ; 4-byte Folded Reload
	scratch_load_dword v15, off, off offset:780 ; 4-byte Folded Reload
	;; [unrolled: 1-line block ×3, first 2 shown]
	v_mfma_f32_16x16x32_fp8_fp8 a[228:231], v[0:1], v[112:113], a[80:83]
	scratch_load_dword v0, off, off offset:784 ; 4-byte Folded Reload
	scratch_load_dword v1, off, off offset:776 ; 4-byte Folded Reload
	v_accvgpr_read_b32 v17, a51
	v_mfma_f32_16x16x32_fp8_fp8 a[80:83], v[22:23], v[126:127], a[100:103]
	s_waitcnt vmcnt(1)
	v_lshlrev_b16_e32 v0, 8, v0
	s_waitcnt vmcnt(0)
	v_or_b32_sdwa v0, v1, v0 dst_sel:WORD_1 dst_unused:UNUSED_PAD src0_sel:BYTE_0 src1_sel:DWORD
	scratch_load_dword v1, off, off offset:764 ; 4-byte Folded Reload
	v_mfma_f32_16x16x32_fp8_fp8 a[100:103], v[22:23], v[120:121], a[112:115]
	s_waitcnt vmcnt(0)
	v_lshlrev_b16_e32 v1, 8, v1
	v_or_b32_sdwa v14, v14, v1 dst_sel:WORD_1 dst_unused:UNUSED_PAD src0_sel:BYTE_0 src1_sel:DWORD
	v_or_b32_sdwa v1, v205, v0 dst_sel:DWORD dst_unused:UNUSED_PAD src0_sel:WORD_0 src1_sel:DWORD
	v_or_b32_sdwa v0, v206, v14 dst_sel:DWORD dst_unused:UNUSED_PAD src0_sel:WORD_0 src1_sel:DWORD
	scratch_load_dword v14, off, off offset:788 ; 4-byte Folded Reload
	v_mfma_f32_16x16x32_fp8_fp8 a[112:115], v[22:23], v[110:111], a[116:119]
	s_waitcnt vmcnt(0)
	v_lshlrev_b16_e32 v14, 8, v14
	v_or_b32_sdwa v14, v15, v14 dst_sel:WORD_1 dst_unused:UNUSED_PAD src0_sel:BYTE_0 src1_sel:DWORD
	scratch_load_dword v15, off, off offset:772 ; 4-byte Folded Reload
	v_mfma_f32_16x16x32_fp8_fp8 a[116:119], v[22:23], v[136:137], a[228:231]
	scratch_load_dword v22, off, off offset:1032 ; 4-byte Folded Reload
	v_or_b32_sdwa v37, v207, v14 dst_sel:DWORD dst_unused:UNUSED_PAD src0_sel:WORD_0 src1_sel:DWORD
	v_accvgpr_read_b32 v14, a48
	s_waitcnt vmcnt(1)
	v_lshlrev_b16_e32 v15, 8, v15
	v_or_b32_sdwa v15, v16, v15 dst_sel:WORD_1 dst_unused:UNUSED_PAD src0_sel:BYTE_0 src1_sel:DWORD
	s_waitcnt vmcnt(0)
	v_add_u32_e32 v60, v48, v22
	v_or_b32_sdwa v36, v210, v15 dst_sel:DWORD dst_unused:UNUSED_PAD src0_sel:WORD_0 src1_sel:DWORD
	ds_write_b128 v60, v[32:35]
	v_mfma_f32_16x16x32_fp8_fp8 a[232:235], v[0:1], v[112:113], a[40:43]
	v_accvgpr_read_b32 v16, a50
	v_accvgpr_read_b32 v15, a49
	buffer_load_dwordx4 v[32:35], v61, s[0:3], 0 offen
	v_mfma_f32_16x16x32_fp8_fp8 a[68:71], v[0:1], v[146:147], a[68:71]
	s_waitcnt vmcnt(0)
	scratch_store_dwordx4 off, v[32:35], off offset:516 ; 16-byte Folded Spill
	v_mfma_f32_16x16x32_fp8_fp8 a[64:67], v[0:1], v[148:149], a[64:67]
	s_nop 0
	v_lshlrev_b16_e32 v32, 8, v26
	scratch_load_dword v26, off, off offset:316 ; 4-byte Folded Reload
	v_lshlrev_b16_e32 v35, 8, v182
	v_mfma_f32_16x16x32_fp8_fp8 a[48:51], v[36:37], v[140:141], a[68:71]
	v_lshlrev_b16_e32 v33, 8, v27
	v_lshlrev_b16_e32 v34, 8, v216
	;; [unrolled: 1-line block ×3, first 2 shown]
	v_mfma_f32_16x16x32_fp8_fp8 a[44:47], v[36:37], v[138:139], a[64:67]
	v_mfma_f32_16x16x32_fp8_fp8 a[60:63], v[0:1], v[150:151], a[60:63]
	;; [unrolled: 1-line block ×3, first 2 shown]
	s_nop 2
	v_accvgpr_write_b32 a55, v17
	v_accvgpr_write_b32 a54, v16
	;; [unrolled: 1-line block ×4, first 2 shown]
	scratch_load_dword v14, off, off offset:852 ; 4-byte Folded Reload
	scratch_load_dword v15, off, off offset:848 ; 4-byte Folded Reload
	v_mfma_f32_16x16x32_fp8_fp8 a[68:71], v[0:1], v[154:155], a[52:55]
	s_waitcnt vmcnt(1)
	v_lshlrev_b16_e32 v14, 8, v14
	s_nop 0
	v_accvgpr_write_b32 a55, v21
	v_accvgpr_write_b32 a54, v20
	;; [unrolled: 1-line block ×4, first 2 shown]
	v_or_b32_sdwa v89, v89, v14 dst_sel:DWORD dst_unused:UNUSED_PAD src0_sel:BYTE_0 src1_sel:DWORD
	scratch_load_dword v14, off, off offset:640 ; 4-byte Folded Reload
	v_mfma_f32_16x16x32_fp8_fp8 a[228:231], v[0:1], v[156:157], a[52:55]
	s_waitcnt vmcnt(1)
	v_lshlrev_b16_e32 v15, 8, v15
	v_or_b32_sdwa v88, v88, v15 dst_sel:DWORD dst_unused:UNUSED_PAD src0_sel:BYTE_0 src1_sel:DWORD
	v_accvgpr_read_b32 v21, a75
	v_mfma_f32_16x16x32_fp8_fp8 a[56:59], v[0:1], v[118:119], a[56:59]
	scratch_load_dword v0, off, off offset:844 ; 4-byte Folded Reload
	scratch_load_dword v1, off, off offset:840 ; 4-byte Folded Reload
	v_accvgpr_read_b32 v20, a74
	v_accvgpr_read_b32 v19, a73
	v_accvgpr_read_b32 v18, a72
	s_waitcnt vmcnt(1)
	v_lshlrev_b16_e32 v0, 8, v0
	s_waitcnt vmcnt(0)
	v_lshlrev_b16_e32 v1, 8, v1
	v_or_b32_sdwa v87, v87, v0 dst_sel:DWORD dst_unused:UNUSED_PAD src0_sel:BYTE_0 src1_sel:DWORD
	scratch_load_dword v0, off, off offset:688 ; 4-byte Folded Reload
	v_or_b32_sdwa v86, v86, v1 dst_sel:DWORD dst_unused:UNUSED_PAD src0_sel:BYTE_0 src1_sel:DWORD
	scratch_load_dword v1, off, off offset:664 ; 4-byte Folded Reload
	s_waitcnt vmcnt(1)
	v_lshlrev_b16_e32 v0, 8, v0
	s_waitcnt vmcnt(0)
	v_or_b32_sdwa v0, v1, v0 dst_sel:WORD_1 dst_unused:UNUSED_PAD src0_sel:BYTE_0 src1_sel:DWORD
	scratch_load_dword v1, off, off offset:652 ; 4-byte Folded Reload
	v_or_b32_sdwa v23, v4, v0 dst_sel:DWORD dst_unused:UNUSED_PAD src0_sel:WORD_0 src1_sel:DWORD
	scratch_load_dword v0, off, off offset:696 ; 4-byte Folded Reload
	scratch_load_dword v4, off, off offset:648 ; 4-byte Folded Reload
	s_waitcnt vmcnt(2)
	v_lshlrev_b16_e32 v1, 8, v1
	v_or_b32_sdwa v1, v14, v1 dst_sel:WORD_1 dst_unused:UNUSED_PAD src0_sel:BYTE_0 src1_sel:DWORD
	s_waitcnt vmcnt(1)
	v_lshlrev_b16_e32 v0, 8, v0
	v_or_b32_sdwa v22, v13, v1 dst_sel:DWORD dst_unused:UNUSED_PAD src0_sel:WORD_0 src1_sel:DWORD
	scratch_load_dword v1, off, off offset:672 ; 4-byte Folded Reload
	scratch_load_dwordx4 v[14:17], off, off offset:500 ; 16-byte Folded Reload
	v_add_u32_e32 v13, s23, v61
	v_or_b32_sdwa v61, v26, v32 dst_sel:WORD_1 dst_unused:UNUSED_PAD src0_sel:BYTE_0 src1_sel:DWORD
	scratch_load_dword v26, off, off offset:308 ; 4-byte Folded Reload
	s_waitcnt vmcnt(2)
	v_or_b32_sdwa v0, v1, v0 dst_sel:WORD_1 dst_unused:UNUSED_PAD src0_sel:BYTE_0 src1_sel:DWORD
	s_nop 0
	v_or_b32_sdwa v49, v2, v0 dst_sel:DWORD dst_unused:UNUSED_PAD src0_sel:WORD_0 src1_sel:DWORD
	scratch_load_dword v0, off, off offset:1036 ; 4-byte Folded Reload
	scratch_load_dword v1, off, off offset:660 ; 4-byte Folded Reload
	v_accvgpr_read_b32 v2, a246
	v_lshlrev_b16_e32 v2, 8, v2
	s_waitcnt vmcnt(2)
	v_lshlrev_b16_e32 v32, 8, v26
	scratch_load_dword v26, off, off offset:304 ; 4-byte Folded Reload
	s_waitcnt vmcnt(2)
	v_add_u32_e32 v0, v60, v0
	ds_write_b128 v0, v[14:17]
	buffer_load_dwordx4 v[14:17], v13, s[0:3], 0 offen
	s_waitcnt vmcnt(2)
	v_lshlrev_b16_e32 v1, 8, v1
	v_or_b32_sdwa v1, v4, v1 dst_sel:WORD_1 dst_unused:UNUSED_PAD src0_sel:BYTE_0 src1_sel:DWORD
	v_mfma_f32_16x16x32_fp8_fp8 a[120:123], v[22:23], v[154:155], a[120:123]
	v_or_b32_sdwa v48, v3, v1 dst_sel:DWORD dst_unused:UNUSED_PAD src0_sel:WORD_0 src1_sel:DWORD
	v_accvgpr_read_b32 v3, a254
	v_accvgpr_read_b32 v1, a238
	v_lshlrev_b16_e32 v1, 8, v1
	v_or_b32_sdwa v4, v107, v1 dst_sel:DWORD dst_unused:UNUSED_PAD src0_sel:BYTE_0 src1_sel:DWORD
	v_mfma_f32_16x16x32_fp8_fp8 a[52:55], v[36:37], v[134:135], a[60:63]
	v_add_u32_e32 v13, s23, v13
	v_add_u32_e32 v107, s24, v55
	s_waitcnt vmcnt(0)
	scratch_store_dwordx4 off, v[14:17], off offset:500 ; 16-byte Folded Spill
	s_nop 1
	v_lshlrev_b16_e32 v14, 8, v3
	scratch_load_dword v3, off, off offset:1020 ; 4-byte Folded Reload
	v_or_b32_sdwa v1, v109, v14 dst_sel:DWORD dst_unused:UNUSED_PAD src0_sel:BYTE_0 src1_sel:DWORD
	scratch_load_dword v14, off, off offset:636 ; 4-byte Folded Reload
	scratch_load_dword v16, off, off offset:620 ; 4-byte Folded Reload
	v_mfma_f32_16x16x32_fp8_fp8 a[60:63], v[36:37], v[128:129], a[64:67]
	v_accvgpr_read_b32 v17, a79
	s_waitcnt vmcnt(2)
	v_lshlrev_b16_e32 v15, 8, v3
	v_or_b32_sdwa v3, v106, v2 dst_sel:DWORD dst_unused:UNUSED_PAD src0_sel:BYTE_0 src1_sel:DWORD
	v_or_b32_sdwa v2, v108, v15 dst_sel:DWORD dst_unused:UNUSED_PAD src0_sel:BYTE_0 src1_sel:DWORD
	scratch_load_dword v15, off, off offset:632 ; 4-byte Folded Reload
	s_waitcnt vmcnt(2)
	v_lshlrev_b16_e32 v14, 8, v14
	v_mfma_f32_16x16x32_fp8_fp8 a[64:67], v[36:37], v[126:127], a[68:71]
	v_or_b32_sdwa v106, v26, v32 dst_sel:WORD_1 dst_unused:UNUSED_PAD src0_sel:BYTE_0 src1_sel:DWORD
	v_lshlrev_b16_e32 v32, 8, v28
	v_or_b32_sdwa v32, v25, v32 dst_sel:WORD_1 dst_unused:UNUSED_PAD src0_sel:BYTE_0 src1_sel:DWORD
	v_mfma_f32_16x16x32_fp8_fp8 a[68:71], v[36:37], v[120:121], a[228:231]
	scratch_load_dword v25, off, off offset:296 ; 4-byte Folded Reload
	v_lshlrev_b16_e32 v28, 8, v201
	v_or_b32_sdwa v108, v200, v34 dst_sel:WORD_1 dst_unused:UNUSED_PAD src0_sel:BYTE_0 src1_sel:DWORD
	v_mfma_f32_16x16x32_fp8_fp8 a[40:43], v[36:37], v[110:111], a[56:59]
	v_lshlrev_b16_e32 v34, 8, v196
	v_or_b32_sdwa v109, v195, v34 dst_sel:WORD_1 dst_unused:UNUSED_PAD src0_sel:BYTE_0 src1_sel:DWORD
	v_lshlrev_b16_e32 v34, 8, v198
	v_mfma_f32_16x16x32_fp8_fp8 a[56:59], v[36:37], v[136:137], a[232:235]
	v_or_b32_sdwa v34, v197, v34 dst_sel:WORD_1 dst_unused:UNUSED_PAD src0_sel:BYTE_0 src1_sel:DWORD
	v_lshlrev_b16_e32 v26, 8, v239
	s_waitcnt vmcnt(1)
	v_or_b32_sdwa v14, v15, v14 dst_sel:WORD_1 dst_unused:UNUSED_PAD src0_sel:BYTE_0 src1_sel:DWORD
	scratch_load_dword v15, off, off offset:628 ; 4-byte Folded Reload
	v_or_b32_sdwa v37, v8, v14 dst_sel:DWORD dst_unused:UNUSED_PAD src0_sel:WORD_0 src1_sel:DWORD
	v_accvgpr_read_b32 v14, a76
	scratch_load_dword v8, off, off offset:616 ; 4-byte Folded Reload
	s_waitcnt vmcnt(2)
	v_or_b32_sdwa v33, v25, v33 dst_sel:WORD_1 dst_unused:UNUSED_PAD src0_sel:BYTE_0 src1_sel:DWORD
	v_lshlrev_b16_e32 v25, 8, v194
	s_waitcnt vmcnt(1)
	v_lshlrev_b16_e32 v15, 8, v15
	v_or_b32_sdwa v15, v16, v15 dst_sel:WORD_1 dst_unused:UNUSED_PAD src0_sel:BYTE_0 src1_sel:DWORD
	v_accvgpr_read_b32 v16, a78
	v_or_b32_sdwa v36, v7, v15 dst_sel:DWORD dst_unused:UNUSED_PAD src0_sel:WORD_0 src1_sel:DWORD
	scratch_load_dword v7, off, off offset:1040 ; 4-byte Folded Reload
	v_accvgpr_read_b32 v15, a77
	v_mfma_f32_16x16x32_fp8_fp8 a[76:79], v[48:49], v[126:127], a[120:123]
	s_waitcnt vmcnt(0)
	v_add_u32_e32 v0, v0, v7
	s_nop 0
	v_accvgpr_write_b32 a123, v17
	v_accvgpr_write_b32 a122, v16
	;; [unrolled: 1-line block ×4, first 2 shown]
	scratch_load_dwordx4 v[14:17], off, off offset:336 ; 16-byte Folded Reload
	scratch_load_dword v7, off, off offset:624 ; 4-byte Folded Reload
	s_waitcnt vmcnt(1)
	ds_write_b128 v0, v[14:17]
	buffer_load_dwordx4 v[14:17], v13, s[0:3], 0 offen
	s_waitcnt vmcnt(1)
	v_lshlrev_b16_e32 v7, 8, v7
	v_or_b32_sdwa v7, v8, v7 dst_sel:WORD_1 dst_unused:UNUSED_PAD src0_sel:BYTE_0 src1_sel:DWORD
	scratch_load_dword v8, off, off offset:612 ; 4-byte Folded Reload
	v_mfma_f32_16x16x32_fp8_fp8 a[124:127], v[22:23], v[156:157], a[124:127]
	v_add_u32_e32 v13, s23, v13
	s_waitcnt vmcnt(1)
	scratch_store_dwordx4 off, v[14:17], off offset:336 ; 16-byte Folded Spill
	scratch_load_dword v14, off, off offset:608 ; 4-byte Folded Reload
	s_nop 0
	v_or_b32_sdwa v15, v5, v7 dst_sel:DWORD dst_unused:UNUSED_PAD src0_sel:WORD_0 src1_sel:DWORD
	v_lshlrev_b16_e32 v5, 8, v217
	v_lshlrev_b16_e32 v16, 8, v193
	v_or_b32_sdwa v7, v123, v5 dst_sel:DWORD dst_unused:UNUSED_PAD src0_sel:BYTE_0 src1_sel:DWORD
	v_or_b32_sdwa v5, v125, v16 dst_sel:DWORD dst_unused:UNUSED_PAD src0_sel:BYTE_0 src1_sel:DWORD
	scratch_load_dword v16, off, off offset:1044 ; 4-byte Folded Reload
	s_waitcnt vmcnt(3)
	v_lshlrev_b16_e32 v8, 8, v8
	v_mfma_f32_16x16x32_fp8_fp8 a[72:75], v[48:49], v[120:121], a[124:127]
	v_lshlrev_b16_e32 v17, 8, v31
	v_accvgpr_read_b32 v125, a7
	v_accvgpr_read_b32 v123, a5
	v_accvgpr_write_b32 a127, v21
	v_accvgpr_write_b32 a126, v20
	;; [unrolled: 1-line block ×4, first 2 shown]
	v_lshlrev_b16_e32 v20, 8, v202
	scratch_load_dword v21, off, off offset:252 ; 4-byte Folded Reload
	s_waitcnt vmcnt(2)
	v_or_b32_sdwa v8, v14, v8 dst_sel:WORD_1 dst_unused:UNUSED_PAD src0_sel:BYTE_0 src1_sel:DWORD
	s_nop 0
	v_or_b32_sdwa v14, v6, v8 dst_sel:DWORD dst_unused:UNUSED_PAD src0_sel:WORD_0 src1_sel:DWORD
	v_lshlrev_b16_e32 v6, 8, v214
	v_or_b32_sdwa v8, v122, v6 dst_sel:DWORD dst_unused:UNUSED_PAD src0_sel:BYTE_0 src1_sel:DWORD
	v_or_b32_sdwa v6, v124, v17 dst_sel:DWORD dst_unused:UNUSED_PAD src0_sel:BYTE_0 src1_sel:DWORD
	v_accvgpr_read_b32 v124, a6
	s_waitcnt vmcnt(1)
	v_add_u32_e32 v0, v0, v16
	scratch_load_dwordx4 v[16:19], off, off offset:352 ; 16-byte Folded Reload
	v_accvgpr_read_b32 v122, a4
	scratch_store_dword off, v0, off offset:496 ; 4-byte Folded Spill
	v_accvgpr_mov_b32 a7, a3
	v_accvgpr_mov_b32 a6, a2
	;; [unrolled: 1-line block ×4, first 2 shown]
	v_accvgpr_write_b32 a0, v122
	v_accvgpr_write_b32 a1, v123
	;; [unrolled: 1-line block ×4, first 2 shown]
	scratch_load_dwordx4 v[122:125], off, off offset:432 ; 16-byte Folded Reload
	s_waitcnt vmcnt(2)
	ds_write_b128 v0, v[16:19]
	scratch_load_dword v0, off, off offset:604 ; 4-byte Folded Reload
	buffer_load_dwordx4 v[16:19], v13, s[0:3], 0 offen
	s_waitcnt vmcnt(1)
	v_lshlrev_b16_e32 v0, 8, v0
	scratch_load_dword v13, off, off offset:600 ; 4-byte Folded Reload
	s_waitcnt vmcnt(0)
	v_or_b32_sdwa v0, v13, v0 dst_sel:WORD_1 dst_unused:UNUSED_PAD src0_sel:BYTE_0 src1_sel:DWORD
	scratch_load_dword v13, off, off offset:592 ; 4-byte Folded Reload
	s_waitcnt vmcnt(0)
	v_lshlrev_b16_e32 v13, 8, v13
	scratch_store_dwordx4 off, v[16:19], off offset:352 ; 16-byte Folded Spill
	scratch_load_dword v16, off, off offset:584 ; 4-byte Folded Reload
	s_waitcnt vmcnt(0)
	v_or_b32_sdwa v16, v16, v13 dst_sel:WORD_1 dst_unused:UNUSED_PAD src0_sel:BYTE_0 src1_sel:DWORD
	v_or_b32_sdwa v13, v11, v0 dst_sel:DWORD dst_unused:UNUSED_PAD src0_sel:WORD_0 src1_sel:DWORD
	scratch_load_dword v0, off, off offset:656 ; 4-byte Folded Reload
	scratch_load_dword v11, off, off offset:644 ; 4-byte Folded Reload
	v_or_b32_sdwa v12, v12, v16 dst_sel:DWORD dst_unused:UNUSED_PAD src0_sel:WORD_0 src1_sel:DWORD
	scratch_load_dword v16, off, off offset:588 ; 4-byte Folded Reload
	s_waitcnt vmcnt(2)
	v_lshlrev_b16_e32 v0, 8, v0
	s_waitcnt vmcnt(1)
	v_or_b32_sdwa v0, v11, v0 dst_sel:WORD_1 dst_unused:UNUSED_PAD src0_sel:BYTE_0 src1_sel:DWORD
	scratch_load_dword v11, off, off offset:596 ; 4-byte Folded Reload
	v_or_b32_sdwa v19, v9, v0 dst_sel:DWORD dst_unused:UNUSED_PAD src0_sel:WORD_0 src1_sel:DWORD
	v_mfma_f32_16x16x32_fp8_fp8 a[220:223], v[12:13], v[112:113], a[220:223]
	scratch_load_dword v0, off, off offset:1084 ; 4-byte Folded Reload
	scratch_load_dword v9, off, off offset:580 ; 4-byte Folded Reload
	s_waitcnt vmcnt(2)
	v_lshlrev_b16_e32 v11, 8, v11
	v_or_b32_sdwa v11, v16, v11 dst_sel:WORD_1 dst_unused:UNUSED_PAD src0_sel:BYTE_0 src1_sel:DWORD
	s_waitcnt vmcnt(0)
	v_add_u32_e32 v0, v0, v9
	v_or_b32_sdwa v18, v10, v11 dst_sel:DWORD dst_unused:UNUSED_PAD src0_sel:WORD_0 src1_sel:DWORD
	v_lshlrev_b16_e32 v9, 8, v230
	v_or_b32_sdwa v10, v115, v9 dst_sel:DWORD dst_unused:UNUSED_PAD src0_sel:BYTE_0 src1_sel:DWORD
	v_mfma_f32_16x16x32_fp8_fp8 a[220:223], v[18:19], v[136:137], a[220:223]
	v_lshlrev_b16_e32 v11, 8, v228
	v_or_b32_sdwa v11, v114, v11 dst_sel:DWORD dst_unused:UNUSED_PAD src0_sel:BYTE_0 src1_sel:DWORD
	v_or_b32_sdwa v114, v185, v28 dst_sel:WORD_1 dst_unused:UNUSED_PAD src0_sel:BYTE_0 src1_sel:DWORD
	v_mfma_f32_16x16x32_fp8_fp8 a[196:199], v[12:13], v[150:151], a[196:199]
	v_lshlrev_b16_e32 v115, 8, v186
	v_or_b32_sdwa v99, v99, v115 dst_sel:DWORD dst_unused:UNUSED_PAD src0_sel:BYTE_0 src1_sel:DWORD
	v_or_b32_sdwa v106, v11, v106 dst_sel:DWORD dst_unused:UNUSED_PAD src0_sel:WORD_0 src1_sel:DWORD
	v_mfma_f32_16x16x32_fp8_fp8 a[200:203], v[12:13], v[152:153], a[200:203]
	v_lshlrev_b16_e32 v28, 8, v43
	v_lshlrev_b16_e32 v43, 8, v218
	v_mfma_f32_16x16x32_fp8_fp8 a[208:211], v[12:13], v[154:155], a[208:211]
	v_mfma_f32_16x16x32_fp8_fp8 a[212:215], v[12:13], v[156:157], a[212:215]
	v_mfma_f32_16x16x32_fp8_fp8 a[216:219], v[12:13], v[118:119], a[216:219]
	v_mfma_f32_16x16x32_fp8_fp8 a[196:199], v[18:19], v[134:135], a[196:199]
	v_mfma_f32_16x16x32_fp8_fp8 a[200:203], v[18:19], v[128:129], a[200:203]
	v_mfma_f32_16x16x32_fp8_fp8 a[208:211], v[18:19], v[126:127], a[208:211]
	v_mfma_f32_16x16x32_fp8_fp8 a[212:215], v[18:19], v[120:121], a[212:215]
	v_mfma_f32_16x16x32_fp8_fp8 a[216:219], v[18:19], v[110:111], a[216:219]
	v_mfma_f32_16x16x32_fp8_fp8 a[176:179], v[36:37], v[112:113], a[176:179]
	v_mfma_f32_16x16x32_fp8_fp8 a[176:179], v[14:15], v[136:137], a[176:179]
	v_mfma_f32_16x16x32_fp8_fp8 a[188:191], v[36:37], v[118:119], a[188:191]
	v_mfma_f32_16x16x32_fp8_fp8 a[188:191], v[14:15], v[110:111], a[188:191]
	v_mfma_f32_16x16x32_fp8_fp8 a[184:187], v[36:37], v[156:157], a[184:187]
	v_mfma_f32_16x16x32_fp8_fp8 a[184:187], v[14:15], v[120:121], a[184:187]
	v_mfma_f32_16x16x32_fp8_fp8 a[172:175], v[36:37], v[150:151], a[172:175]
	v_mfma_f32_16x16x32_fp8_fp8 a[192:195], v[36:37], v[152:153], a[192:195]
	v_mfma_f32_16x16x32_fp8_fp8 a[180:183], v[36:37], v[154:155], a[180:183]
	v_mfma_f32_16x16x32_fp8_fp8 a[172:175], v[14:15], v[134:135], a[172:175]
	v_mfma_f32_16x16x32_fp8_fp8 a[192:195], v[14:15], v[128:129], a[192:195]
	v_mfma_f32_16x16x32_fp8_fp8 a[180:183], v[14:15], v[126:127], a[180:183]
	v_mfma_f32_16x16x32_fp8_fp8 a[228:231], v[36:37], v[148:149], a[168:171]
	v_mfma_f32_16x16x32_fp8_fp8 a[36:39], v[36:37], v[146:147], a[36:39]
	v_or_b32_sdwa v36, v187, v24 dst_sel:WORD_1 dst_unused:UNUSED_PAD src0_sel:BYTE_0 src1_sel:DWORD
	v_lshlrev_b16_e32 v24, 8, v192
	v_or_b32_sdwa v40, v255, v24 dst_sel:WORD_1 dst_unused:UNUSED_PAD src0_sel:BYTE_0 src1_sel:DWORD
	v_mfma_f32_16x16x32_fp8_fp8 a[168:171], v[14:15], v[140:141], a[36:39]
	v_lshlrev_b16_e32 v24, 8, v254
	v_or_b32_sdwa v41, v251, v24 dst_sel:WORD_1 dst_unused:UNUSED_PAD src0_sel:BYTE_0 src1_sel:DWORD
	v_lshlrev_b16_e32 v24, 8, v244
	v_mfma_f32_16x16x32_fp8_fp8 a[36:39], v[14:15], v[138:139], a[228:231]
	scratch_load_dwordx4 v[14:17], off, off offset:368 ; 16-byte Folded Reload
	v_lshlrev_b16_e32 v37, 8, v38
	v_lshlrev_b16_e32 v38, 8, v236
	s_waitcnt vmcnt(0)
	ds_write_b128 v0, v[14:17] offset:28672
	buffer_load_dwordx4 v[14:17], v55, s[4:7], 0 offen
	v_mfma_f32_16x16x32_fp8_fp8 a[160:163], v[12:13], v[146:147], a[160:163]
	s_waitcnt vmcnt(0)
	scratch_store_dwordx4 off, v[14:17], off offset:368 ; 16-byte Folded Spill
	v_mfma_f32_16x16x32_fp8_fp8 a[164:167], v[12:13], v[148:149], a[164:167]
	v_lshlrev_b16_e32 v12, 8, v229
	v_lshlrev_b16_e32 v13, 8, v227
	v_or_b32_sdwa v9, v117, v12 dst_sel:DWORD dst_unused:UNUSED_PAD src0_sel:BYTE_0 src1_sel:DWORD
	v_or_b32_sdwa v12, v116, v13 dst_sel:DWORD dst_unused:UNUSED_PAD src0_sel:BYTE_0 src1_sel:DWORD
	v_lshlrev_b16_e32 v13, 8, v211
	v_lshlrev_b16_e32 v17, 8, v203
	;; [unrolled: 1-line block ×3, first 2 shown]
	v_or_b32_sdwa v15, v143, v13 dst_sel:DWORD dst_unused:UNUSED_PAD src0_sel:BYTE_0 src1_sel:DWORD
	v_or_b32_sdwa v13, v145, v17 dst_sel:DWORD dst_unused:UNUSED_PAD src0_sel:BYTE_0 src1_sel:DWORD
	scratch_load_dword v17, off, off offset:272 ; 4-byte Folded Reload
	v_or_b32_sdwa v16, v142, v14 dst_sel:DWORD dst_unused:UNUSED_PAD src0_sel:BYTE_0 src1_sel:DWORD
	v_or_b32_sdwa v14, v144, v20 dst_sel:DWORD dst_unused:UNUSED_PAD src0_sel:BYTE_0 src1_sel:DWORD
	scratch_load_dword v20, off, off offset:264 ; 4-byte Folded Reload
	v_mfma_f32_16x16x32_fp8_fp8 a[160:163], v[18:19], v[140:141], a[160:163]
	v_or_b32_sdwa v116, v199, v27 dst_sel:WORD_1 dst_unused:UNUSED_PAD src0_sel:BYTE_0 src1_sel:DWORD
	v_lshlrev_b16_e32 v144, 8, v237
	v_or_b32_sdwa v27, v184, v25 dst_sel:WORD_1 dst_unused:UNUSED_PAD src0_sel:BYTE_0 src1_sel:DWORD
	v_mfma_f32_16x16x32_fp8_fp8 a[164:167], v[18:19], v[138:139], a[164:167]
	scratch_load_dword v18, off, off offset:200 ; 4-byte Folded Reload
	v_lshlrev_b16_e32 v142, 8, v243
	v_or_b32_sdwa v93, v93, v142 dst_sel:DWORD dst_unused:UNUSED_PAD src0_sel:BYTE_0 src1_sel:DWORD
	v_mfma_f32_16x16x32_fp8_fp8 a[120:123], v[22:23], v[118:119], a[120:123]
	v_lshlrev_b16_e32 v25, 8, v238
	v_lshlrev_b16_e32 v143, 8, v39
	;; [unrolled: 1-line block ×3, first 2 shown]
	v_mfma_f32_16x16x32_fp8_fp8 a[124:127], v[22:23], v[112:113], a[124:127]
	v_lshlrev_b16_e32 v117, 8, v249
	v_lshlrev_b16_e32 v145, 8, v212
	v_or_b32_sdwa v98, v98, v117 dst_sel:DWORD dst_unused:UNUSED_PAD src0_sel:BYTE_0 src1_sel:DWORD
	v_mfma_f32_16x16x32_fp8_fp8 a[28:31], v[22:23], v[146:147], a[28:31]
	v_or_b32_sdwa v95, v95, v143 dst_sel:DWORD dst_unused:UNUSED_PAD src0_sel:BYTE_0 src1_sel:DWORD
	v_or_b32_sdwa v94, v94, v145 dst_sel:DWORD dst_unused:UNUSED_PAD src0_sel:BYTE_0 src1_sel:DWORD
	v_or_b32_sdwa v117, v99, v40 dst_sel:DWORD dst_unused:UNUSED_PAD src0_sel:WORD_0 src1_sel:DWORD
	v_mfma_f32_16x16x32_fp8_fp8 a[32:35], v[22:23], v[148:149], a[32:35]
	v_lshlrev_b16_e32 v42, 8, v188
	s_waitcnt vmcnt(2)
	v_lshlrev_b16_e32 v17, 8, v17
	v_mfma_f32_16x16x32_fp8_fp8 a[104:107], v[22:23], v[150:151], a[104:107]
	s_waitcnt vmcnt(1)
	v_or_b32_sdwa v17, v20, v17 dst_sel:WORD_1 dst_unused:UNUSED_PAD src0_sel:BYTE_0 src1_sel:DWORD
	scratch_load_dword v20, off, off offset:260 ; 4-byte Folded Reload
	v_or_b32_sdwa v87, v87, v17 dst_sel:DWORD dst_unused:UNUSED_PAD src0_sel:WORD_0 src1_sel:DWORD
	scratch_load_dword v17, off, off offset:1052 ; 4-byte Folded Reload
	v_mfma_f32_16x16x32_fp8_fp8 a[108:111], v[22:23], v[152:153], a[108:111]
	s_waitcnt vmcnt(1)
	v_lshlrev_b16_e32 v20, 8, v20
	v_or_b32_sdwa v20, v21, v20 dst_sel:WORD_1 dst_unused:UNUSED_PAD src0_sel:BYTE_0 src1_sel:DWORD
	s_waitcnt vmcnt(0)
	v_add_u32_e32 v19, v17, v0
	v_or_b32_sdwa v86, v86, v20 dst_sel:DWORD dst_unused:UNUSED_PAD src0_sel:WORD_0 src1_sel:DWORD
	scratch_load_dwordx4 v[20:23], off, off offset:384 ; 16-byte Folded Reload
	scratch_load_dword v17, off, off offset:204 ; 4-byte Folded Reload
	s_waitcnt vmcnt(1)
	ds_write_b128 v19, v[20:23] offset:28800
	buffer_load_dwordx4 v[20:23], v107, s[4:7], 0 offen
	s_waitcnt vmcnt(1)
	v_lshlrev_b16_e32 v17, 8, v17
	v_or_b32_sdwa v17, v18, v17 dst_sel:WORD_1 dst_unused:UNUSED_PAD src0_sel:BYTE_0 src1_sel:DWORD
	scratch_load_dword v18, off, off offset:196 ; 4-byte Folded Reload
	v_or_b32_sdwa v89, v89, v17 dst_sel:DWORD dst_unused:UNUSED_PAD src0_sel:WORD_0 src1_sel:DWORD
	v_lshlrev_b16_e32 v17, 8, v232
	v_mfma_f32_16x16x32_fp8_fp8 a[228:231], v[86:87], v[148:149], a[24:27]
	v_lshlrev_b16_e32 v149, 8, v215
	v_lshlrev_b16_e32 v148, 8, v221
	s_waitcnt vmcnt(1)
	scratch_store_dwordx4 off, v[20:23], off offset:384 ; 16-byte Folded Spill
	scratch_load_dword v20, off, off offset:168 ; 4-byte Folded Reload
	s_nop 0
	v_lshlrev_b16_e32 v22, 8, v231
	s_waitcnt vmcnt(2)
	v_lshlrev_b16_e32 v18, 8, v18
	v_lshlrev_b16_e32 v23, 8, v209
	v_mfma_f32_16x16x32_fp8_fp8 a[24:27], v[86:87], v[150:151], a[20:23]
	v_lshlrev_b16_e32 v150, 8, v222
	s_waitcnt vmcnt(0)
	v_or_b32_sdwa v18, v20, v18 dst_sel:WORD_1 dst_unused:UNUSED_PAD src0_sel:BYTE_0 src1_sel:DWORD
	s_nop 0
	v_or_b32_sdwa v88, v88, v18 dst_sel:DWORD dst_unused:UNUSED_PAD src0_sel:WORD_0 src1_sel:DWORD
	v_lshlrev_b16_e32 v18, 8, v213
	v_or_b32_sdwa v20, v131, v17 dst_sel:DWORD dst_unused:UNUSED_PAD src0_sel:BYTE_0 src1_sel:DWORD
	v_or_b32_sdwa v17, v133, v22 dst_sel:DWORD dst_unused:UNUSED_PAD src0_sel:BYTE_0 src1_sel:DWORD
	scratch_load_dword v22, off, off offset:228 ; 4-byte Folded Reload
	v_or_b32_sdwa v21, v130, v18 dst_sel:DWORD dst_unused:UNUSED_PAD src0_sel:BYTE_0 src1_sel:DWORD
	v_or_b32_sdwa v18, v132, v23 dst_sel:DWORD dst_unused:UNUSED_PAD src0_sel:BYTE_0 src1_sel:DWORD
	scratch_load_dword v23, off, off offset:224 ; 4-byte Folded Reload
	v_mfma_f32_16x16x32_fp8_fp8 a[20:23], v[86:87], v[152:153], a[16:19]
	v_or_b32_sdwa v115, v20, v114 dst_sel:DWORD dst_unused:UNUSED_PAD src0_sel:WORD_0 src1_sel:DWORD
	v_or_b32_sdwa v114, v21, v116 dst_sel:DWORD dst_unused:UNUSED_PAD src0_sel:WORD_0 src1_sel:DWORD
	scratch_load_dword v21, off, off offset:1064 ; 4-byte Folded Reload
	v_mfma_f32_16x16x32_fp8_fp8 a[16:19], v[86:87], v[154:155], a[12:15]
	v_lshlrev_b16_e32 v133, 8, v248
	v_lshlrev_b16_e32 v132, 8, v247
	v_or_b32_sdwa v132, v100, v132 dst_sel:DWORD dst_unused:UNUSED_PAD src0_sel:BYTE_0 src1_sel:DWORD
	v_mfma_f32_16x16x32_fp8_fp8 a[12:15], v[86:87], v[156:157], a[8:11]
	v_add_u32_e32 v157, s24, v107
	v_lshlrev_b16_e32 v130, 8, v252
	v_or_b32_sdwa v107, v10, v61 dst_sel:DWORD dst_unused:UNUSED_PAD src0_sel:WORD_0 src1_sel:DWORD
	v_mfma_f32_16x16x32_fp8_fp8 a[12:15], v[88:89], v[120:121], a[12:15]
	scratch_load_dword v120, off, off offset:1060 ; 4-byte Folded Reload
	v_or_b32_sdwa v10, v242, v150 dst_sel:WORD_1 dst_unused:UNUSED_PAD src0_sel:BYTE_0 src1_sel:DWORD
	v_lshlrev_b16_e32 v131, 8, v253
	v_or_b32_sdwa v53, v219, v131 dst_sel:WORD_1 dst_unused:UNUSED_PAD src0_sel:BYTE_0 src1_sel:DWORD
	v_or_b32_sdwa v131, v13, v34 dst_sel:DWORD dst_unused:UNUSED_PAD src0_sel:WORD_0 src1_sel:DWORD
	scratch_load_dword v13, off, off offset:240 ; 4-byte Folded Reload
	v_or_b32_sdwa v116, v98, v41 dst_sel:DWORD dst_unused:UNUSED_PAD src0_sel:WORD_0 src1_sel:DWORD
	s_waitcnt vmcnt(4)
	v_lshlrev_b16_e32 v22, 8, v22
	s_waitcnt vmcnt(3)
	v_or_b32_sdwa v60, v23, v22 dst_sel:WORD_1 dst_unused:UNUSED_PAD src0_sel:BYTE_0 src1_sel:DWORD
	scratch_load_dword v22, off, off offset:220 ; 4-byte Folded Reload
	scratch_load_dword v23, off, off offset:236 ; 4-byte Folded Reload
	v_or_b32_sdwa v59, v4, v60 dst_sel:DWORD dst_unused:UNUSED_PAD src0_sel:WORD_0 src1_sel:DWORD
	s_waitcnt vmcnt(3)
	v_add_u32_e32 v19, v19, v120
	ds_write_b128 v19, v[122:125] offset:28800
	buffer_load_dwordx4 v[122:125], v157, s[4:7], 0 offen
	s_waitcnt vmcnt(3)
	v_or_b32_sdwa v13, v13, v28 dst_sel:WORD_1 dst_unused:UNUSED_PAD src0_sel:BYTE_0 src1_sel:DWORD
	s_waitcnt vmcnt(2)
	v_lshlrev_b16_e32 v22, 8, v22
	s_waitcnt vmcnt(1)
	v_or_b32_sdwa v44, v23, v22 dst_sel:WORD_1 dst_unused:UNUSED_PAD src0_sel:BYTE_0 src1_sel:DWORD
	scratch_load_dword v22, off, off offset:332 ; 4-byte Folded Reload
	scratch_load_dword v23, off, off offset:328 ; 4-byte Folded Reload
	s_waitcnt vmcnt(1)
	v_lshlrev_b16_e32 v22, 8, v22
	s_waitcnt vmcnt(0)
	v_or_b32_sdwa v46, v23, v22 dst_sel:WORD_1 dst_unused:UNUSED_PAD src0_sel:BYTE_0 src1_sel:DWORD
	scratch_load_dword v22, off, off offset:324 ; 4-byte Folded Reload
	scratch_load_dword v23, off, off offset:320 ; 4-byte Folded Reload
	v_or_b32_sdwa v185, v7, v46 dst_sel:DWORD dst_unused:UNUSED_PAD src0_sel:WORD_0 src1_sel:DWORD
	scratch_store_dwordx4 off, v[122:125], off offset:432 ; 16-byte Folded Spill
	v_or_b32_sdwa v7, v250, v148 dst_sel:WORD_1 dst_unused:UNUSED_PAD src0_sel:BYTE_0 src1_sel:DWORD
	s_waitcnt vmcnt(2)
	v_lshlrev_b16_e32 v22, 8, v22
	s_waitcnt vmcnt(1)
	v_or_b32_sdwa v47, v23, v22 dst_sel:WORD_1 dst_unused:UNUSED_PAD src0_sel:BYTE_0 src1_sel:DWORD
	scratch_load_dword v22, off, off offset:208 ; 4-byte Folded Reload
	scratch_load_dword v23, off, off offset:232 ; 4-byte Folded Reload
	v_or_b32_sdwa v124, v16, v109 dst_sel:DWORD dst_unused:UNUSED_PAD src0_sel:WORD_0 src1_sel:DWORD
	v_or_b32_sdwa v125, v15, v108 dst_sel:DWORD dst_unused:UNUSED_PAD src0_sel:WORD_0 src1_sel:DWORD
	;; [unrolled: 1-line block ×3, first 2 shown]
	v_or_b32_sdwa v8, v102, v149 dst_sel:DWORD dst_unused:UNUSED_PAD src0_sel:BYTE_0 src1_sel:DWORD
	v_or_b32_sdwa v122, v18, v36 dst_sel:DWORD dst_unused:UNUSED_PAD src0_sel:WORD_0 src1_sel:DWORD
	v_or_b32_sdwa v123, v17, v27 dst_sel:DWORD dst_unused:UNUSED_PAD src0_sel:WORD_0 src1_sel:DWORD
	v_or_b32_sdwa v17, v233, v43 dst_sel:WORD_1 dst_unused:UNUSED_PAD src0_sel:BYTE_0 src1_sel:DWORD
	s_waitcnt vmcnt(1)
	v_lshlrev_b16_e32 v22, 8, v22
	s_waitcnt vmcnt(0)
	v_or_b32_sdwa v22, v23, v22 dst_sel:WORD_1 dst_unused:UNUSED_PAD src0_sel:BYTE_0 src1_sel:DWORD
	scratch_load_dword v23, off, off offset:216 ; 4-byte Folded Reload
	s_waitcnt vmcnt(0)
	v_lshlrev_b16_e32 v23, 8, v23
	v_or_b32_sdwa v23, v29, v23 dst_sel:WORD_1 dst_unused:UNUSED_PAD src0_sel:BYTE_0 src1_sel:DWORD
	scratch_load_dword v29, off, off offset:300 ; 4-byte Folded Reload
	v_or_b32_sdwa v2, v2, v23 dst_sel:DWORD dst_unused:UNUSED_PAD src0_sel:WORD_0 src1_sel:DWORD
	scratch_load_dword v23, off, off offset:1076 ; 4-byte Folded Reload
	s_waitcnt vmcnt(1)
	v_or_b32_sdwa v30, v29, v30 dst_sel:WORD_1 dst_unused:UNUSED_PAD src0_sel:BYTE_0 src1_sel:DWORD
	scratch_load_dword v29, off, off offset:312 ; 4-byte Folded Reload
	v_or_b32_sdwa v183, v5, v30 dst_sel:DWORD dst_unused:UNUSED_PAD src0_sel:WORD_0 src1_sel:DWORD
	scratch_load_dword v5, off, off offset:148 ; 4-byte Folded Reload
	s_waitcnt vmcnt(1)
	v_lshlrev_b16_e32 v31, 8, v29
	scratch_load_dword v29, off, off offset:292 ; 4-byte Folded Reload
	s_waitcnt vmcnt(0)
	v_or_b32_sdwa v31, v29, v31 dst_sel:WORD_1 dst_unused:UNUSED_PAD src0_sel:BYTE_0 src1_sel:DWORD
	v_or_b32_sdwa v29, v52, v35 dst_sel:WORD_1 dst_unused:UNUSED_PAD src0_sel:BYTE_0 src1_sel:DWORD
	scratch_load_dword v35, off, off offset:968 ; 4-byte Folded Reload
	v_or_b32_sdwa v182, v6, v31 dst_sel:DWORD dst_unused:UNUSED_PAD src0_sel:WORD_0 src1_sel:DWORD
	scratch_load_dword v52, off, off offset:988 ; 4-byte Folded Reload
	s_waitcnt vmcnt(1)
	v_lshlrev_b16_e32 v151, 8, v35
	scratch_load_dword v35, off, off offset:192 ; 4-byte Folded Reload
	v_or_b32_sdwa v11, v75, v151 dst_sel:DWORD dst_unused:UNUSED_PAD src0_sel:BYTE_0 src1_sel:DWORD
	v_or_b32_sdwa v75, v9, v32 dst_sel:DWORD dst_unused:UNUSED_PAD src0_sel:WORD_0 src1_sel:DWORD
	s_waitcnt vmcnt(1)
	v_lshlrev_b16_e32 v155, 8, v52
	scratch_load_dword v52, off, off offset:172 ; 4-byte Folded Reload
	v_add_u32_e32 v9, s24, v157
	s_waitcnt vmcnt(1)
	v_lshlrev_b16_e32 v152, 8, v35
	scratch_load_dword v35, off, off offset:964 ; 4-byte Folded Reload
	s_waitcnt vmcnt(1)
	v_lshlrev_b16_e32 v156, 8, v52
	scratch_load_dword v52, off, off offset:980 ; 4-byte Folded Reload
	v_or_b32_sdwa v6, v5, v156 dst_sel:WORD_1 dst_unused:UNUSED_PAD src0_sel:BYTE_0 src1_sel:DWORD
	s_waitcnt vmcnt(1)
	v_lshlrev_b16_e32 v153, 8, v35
	v_or_b32_sdwa v16, v74, v153 dst_sel:DWORD dst_unused:UNUSED_PAD src0_sel:BYTE_0 src1_sel:DWORD
	v_or_b32_sdwa v74, v12, v33 dst_sel:DWORD dst_unused:UNUSED_PAD src0_sel:WORD_0 src1_sel:DWORD
	scratch_load_dwordx4 v[30:33], off, off offset:400 ; 16-byte Folded Reload
	v_add_u32_e32 v12, v19, v21
	scratch_load_dword v35, off, off offset:188 ; 4-byte Folded Reload
	s_waitcnt vmcnt(2)
	v_lshlrev_b16_e32 v54, 8, v52
	scratch_load_dword v52, off, off offset:176 ; 4-byte Folded Reload
	scratch_load_dword v19, off, off offset:152 ; 4-byte Folded Reload
	s_waitcnt vmcnt(3)
	ds_write_b128 v12, v[30:33] offset:28800
	v_mfma_f32_16x16x32_fp8_fp8 a[8:11], v[88:89], v[138:139], a[228:231]
	s_waitcnt vmcnt(2)
	v_lshlrev_b16_e32 v154, 8, v35
	scratch_load_dword v35, off, off offset:960 ; 4-byte Folded Reload
	buffer_load_dwordx4 v[30:33], v9, s[4:7], 0 offen
	v_mfma_f32_16x16x32_fp8_fp8 a[20:23], v[88:89], v[128:129], a[20:23]
	s_waitcnt vmcnt(1)
	v_lshlrev_b16_e32 v51, 8, v35
	v_mfma_f32_16x16x32_fp8_fp8 a[16:19], v[88:89], v[126:127], a[16:19]
	scratch_load_dword v35, off, off offset:184 ; 4-byte Folded Reload
	v_or_b32_sdwa v18, v77, v51 dst_sel:DWORD dst_unused:UNUSED_PAD src0_sel:BYTE_0 src1_sel:DWORD
	s_waitcnt vmcnt(1)
	scratch_store_dwordx4 off, v[30:33], off offset:400 ; 16-byte Folded Spill
	v_mfma_f32_16x16x32_fp8_fp8 a[4:7], v[86:87], v[118:119], a[4:7]
	s_waitcnt vmcnt(1)
	v_lshlrev_b16_e32 v50, 8, v35
	v_mfma_f32_16x16x32_fp8_fp8 a[204:207], v[86:87], v[146:147], a[204:207]
	v_lshlrev_b16_e32 v146, 8, v235
	v_lshlrev_b16_e32 v147, 8, v220
	scratch_load_dword v35, off, off offset:956 ; 4-byte Folded Reload
	v_mfma_f32_16x16x32_fp8_fp8 a[204:207], v[88:89], v[140:141], a[204:207]
	v_or_b32_sdwa v4, v103, v147 dst_sel:DWORD dst_unused:UNUSED_PAD src0_sel:BYTE_0 src1_sel:DWORD
	v_or_b32_sdwa v19, v19, v50 dst_sel:WORD_1 dst_unused:UNUSED_PAD src0_sel:BYTE_0 src1_sel:DWORD
	s_waitcnt vmcnt(0)
	v_lshlrev_b16_e32 v45, 8, v35
	v_mfma_f32_16x16x32_fp8_fp8 a[28:31], v[48:49], v[140:141], a[28:31]
	v_lshlrev_b16_e32 v141, 8, v241
	v_lshlrev_b16_e32 v140, 8, v240
	v_or_b32_sdwa v90, v90, v140 dst_sel:DWORD dst_unused:UNUSED_PAD src0_sel:BYTE_0 src1_sel:DWORD
	v_mfma_f32_16x16x32_fp8_fp8 a[32:35], v[48:49], v[138:139], a[32:35]
	v_lshlrev_b16_e32 v139, 8, v246
	v_lshlrev_b16_e32 v138, 8, v245
	v_or_b32_sdwa v91, v91, v138 dst_sel:DWORD dst_unused:UNUSED_PAD src0_sel:BYTE_0 src1_sel:DWORD
	v_mfma_f32_16x16x32_fp8_fp8 a[104:107], v[48:49], v[134:135], a[104:107]
	scratch_load_dword v35, off, off offset:180 ; 4-byte Folded Reload
	s_waitcnt vmcnt(0)
	v_lshlrev_b16_e32 v35, 8, v35
	v_mfma_f32_16x16x32_fp8_fp8 a[108:111], v[48:49], v[128:129], a[108:111]
	v_mfma_f32_16x16x32_fp8_fp8 a[120:123], v[48:49], v[110:111], a[120:123]
	;; [unrolled: 1-line block ×3, first 2 shown]
	v_lshlrev_b16_e32 v49, 8, v58
	scratch_load_dword v58, off, off offset:288 ; 4-byte Folded Reload
	v_lshlrev_b16_e32 v48, 8, v57
	v_lshlrev_b16_e32 v57, 8, v52
	v_or_b32_sdwa v52, v101, v130 dst_sel:DWORD dst_unused:UNUSED_PAD src0_sel:BYTE_0 src1_sel:DWORD
	v_or_b32_sdwa v130, v14, v29 dst_sel:DWORD dst_unused:UNUSED_PAD src0_sel:WORD_0 src1_sel:DWORD
	v_or_b32_sdwa v14, v105, v48 dst_sel:DWORD dst_unused:UNUSED_PAD src0_sel:BYTE_0 src1_sel:DWORD
	v_or_b32_sdwa v105, v52, v53 dst_sel:DWORD dst_unused:UNUSED_PAD src0_sel:WORD_0 src1_sel:DWORD
	s_waitcnt vmcnt(0)
	v_or_b32_sdwa v133, v58, v133 dst_sel:WORD_1 dst_unused:UNUSED_PAD src0_sel:BYTE_0 src1_sel:DWORD
	scratch_load_dword v58, off, off offset:284 ; 4-byte Folded Reload
	s_waitcnt vmcnt(0)
	v_or_b32_sdwa v100, v58, v139 dst_sel:WORD_1 dst_unused:UNUSED_PAD src0_sel:BYTE_0 src1_sel:DWORD
	scratch_load_dword v58, off, off offset:280 ; 4-byte Folded Reload
	v_or_b32_sdwa v101, v91, v100 dst_sel:DWORD dst_unused:UNUSED_PAD src0_sel:WORD_0 src1_sel:DWORD
	v_or_b32_sdwa v91, v4, v7 dst_sel:DWORD dst_unused:UNUSED_PAD src0_sel:WORD_0 src1_sel:DWORD
	v_or_b32_sdwa v7, v70, v54 dst_sel:DWORD dst_unused:UNUSED_PAD src0_sel:BYTE_0 src1_sel:DWORD
	s_waitcnt vmcnt(0)
	v_or_b32_sdwa v128, v58, v141 dst_sel:WORD_1 dst_unused:UNUSED_PAD src0_sel:BYTE_0 src1_sel:DWORD
	scratch_load_dword v58, off, off offset:276 ; 4-byte Folded Reload
	v_or_b32_sdwa v100, v90, v128 dst_sel:DWORD dst_unused:UNUSED_PAD src0_sel:WORD_0 src1_sel:DWORD
	v_or_b32_sdwa v90, v8, v10 dst_sel:DWORD dst_unused:UNUSED_PAD src0_sel:WORD_0 src1_sel:DWORD
	scratch_load_dword v8, off, off offset:136 ; 4-byte Folded Reload
	scratch_load_dword v10, off, off offset:244 ; 4-byte Folded Reload
	s_waitcnt vmcnt(2)
	v_or_b32_sdwa v126, v58, v144 dst_sel:WORD_1 dst_unused:UNUSED_PAD src0_sel:BYTE_0 src1_sel:DWORD
	scratch_load_dword v58, off, off offset:268 ; 4-byte Folded Reload
	v_or_b32_sdwa v99, v95, v126 dst_sel:DWORD dst_unused:UNUSED_PAD src0_sel:WORD_0 src1_sel:DWORD
	s_waitcnt vmcnt(2)
	v_or_b32_sdwa v8, v8, v57 dst_sel:WORD_1 dst_unused:UNUSED_PAD src0_sel:BYTE_0 src1_sel:DWORD
	s_waitcnt vmcnt(1)
	v_or_b32_sdwa v10, v10, v38 dst_sel:WORD_1 dst_unused:UNUSED_PAD src0_sel:BYTE_0 src1_sel:DWORD
	v_or_b32_sdwa v102, v7, v8 dst_sel:DWORD dst_unused:UNUSED_PAD src0_sel:WORD_0 src1_sel:DWORD
	scratch_load_dword v7, off, off offset:248 ; 4-byte Folded Reload
	v_or_b32_sdwa v8, v97, v37 dst_sel:DWORD dst_unused:UNUSED_PAD src0_sel:BYTE_0 src1_sel:DWORD
	s_waitcnt vmcnt(1)
	v_or_b32_sdwa v118, v58, v146 dst_sel:WORD_1 dst_unused:UNUSED_PAD src0_sel:BYTE_0 src1_sel:DWORD
	v_or_b32_sdwa v58, v3, v44 dst_sel:DWORD dst_unused:UNUSED_PAD src0_sel:WORD_0 src1_sel:DWORD
	scratch_load_dword v3, off, off offset:164 ; 4-byte Folded Reload
	v_or_b32_sdwa v98, v94, v118 dst_sel:DWORD dst_unused:UNUSED_PAD src0_sel:WORD_0 src1_sel:DWORD
	s_waitcnt vmcnt(1)
	v_or_b32_sdwa v7, v7, v26 dst_sel:WORD_1 dst_unused:UNUSED_PAD src0_sel:BYTE_0 src1_sel:DWORD
	s_waitcnt vmcnt(0)
	v_or_b32_sdwa v15, v3, v152 dst_sel:WORD_1 dst_unused:UNUSED_PAD src0_sel:BYTE_0 src1_sel:DWORD
	scratch_load_dword v3, off, off offset:156 ; 4-byte Folded Reload
	v_or_b32_sdwa v5, v11, v15 dst_sel:DWORD dst_unused:UNUSED_PAD src0_sel:WORD_0 src1_sel:DWORD
	v_or_b32_sdwa v11, v96, v39 dst_sel:DWORD dst_unused:UNUSED_PAD src0_sel:BYTE_0 src1_sel:DWORD
	v_or_b32_sdwa v15, v234, v49 dst_sel:WORD_1 dst_unused:UNUSED_PAD src0_sel:BYTE_0 src1_sel:DWORD
	s_waitcnt vmcnt(0)
	v_or_b32_sdwa v20, v3, v154 dst_sel:WORD_1 dst_unused:UNUSED_PAD src0_sel:BYTE_0 src1_sel:DWORD
	v_or_b32_sdwa v3, v1, v22 dst_sel:DWORD dst_unused:UNUSED_PAD src0_sel:WORD_0 src1_sel:DWORD
	v_or_b32_sdwa v1, v71, v155 dst_sel:DWORD dst_unused:UNUSED_PAD src0_sel:BYTE_0 src1_sel:DWORD
	v_or_b32_sdwa v103, v1, v6 dst_sel:DWORD dst_unused:UNUSED_PAD src0_sel:WORD_0 src1_sel:DWORD
	scratch_load_dword v1, off, off offset:256 ; 4-byte Folded Reload
	v_or_b32_sdwa v4, v16, v20 dst_sel:DWORD dst_unused:UNUSED_PAD src0_sel:WORD_0 src1_sel:DWORD
	v_or_b32_sdwa v6, v92, v25 dst_sel:DWORD dst_unused:UNUSED_PAD src0_sel:BYTE_0 src1_sel:DWORD
	v_or_b32_sdwa v20, v76, v45 dst_sel:DWORD dst_unused:UNUSED_PAD src0_sel:BYTE_0 src1_sel:DWORD
	v_or_b32_sdwa v96, v6, v7 dst_sel:DWORD dst_unused:UNUSED_PAD src0_sel:WORD_0 src1_sel:DWORD
	v_or_b32_sdwa v92, v11, v13 dst_sel:DWORD dst_unused:UNUSED_PAD src0_sel:WORD_0 src1_sel:DWORD
	v_or_b32_sdwa v7, v18, v19 dst_sel:DWORD dst_unused:UNUSED_PAD src0_sel:WORD_0 src1_sel:DWORD
	v_or_b32_sdwa v16, v104, v42 dst_sel:DWORD dst_unused:UNUSED_PAD src0_sel:BYTE_0 src1_sel:DWORD
	v_or_b32_sdwa v95, v14, v15 dst_sel:DWORD dst_unused:UNUSED_PAD src0_sel:WORD_0 src1_sel:DWORD
	v_or_b32_sdwa v94, v16, v17 dst_sel:DWORD dst_unused:UNUSED_PAD src0_sel:WORD_0 src1_sel:DWORD
	;; [unrolled: 1-line block ×3, first 2 shown]
	scratch_load_dword v22, off, off offset:1072 ; 4-byte Folded Reload
	scratch_load_dwordx4 v[16:19], off, off offset:480 ; 16-byte Folded Reload
	v_mfma_f32_16x16x32_fp8_fp8 a[204:207], v[102:103], v[184:185], a[204:207]
	s_waitcnt vmcnt(2)
	v_or_b32_sdwa v1, v1, v24 dst_sel:WORD_1 dst_unused:UNUSED_PAD src0_sel:BYTE_0 src1_sel:DWORD
	s_nop 0
	v_or_b32_sdwa v97, v93, v1 dst_sel:DWORD dst_unused:UNUSED_PAD src0_sel:WORD_0 src1_sel:DWORD
	scratch_load_dword v1, off, off offset:160 ; 4-byte Folded Reload
	v_or_b32_sdwa v93, v8, v10 dst_sel:DWORD dst_unused:UNUSED_PAD src0_sel:WORD_0 src1_sel:DWORD
	v_add_u32_e32 v8, s24, v9
	scratch_load_dword v9, off, off offset:924 ; 4-byte Folded Reload
	scratch_load_dword v24, off, off offset:1080 ; 4-byte Folded Reload
	s_waitcnt vmcnt(2)
	v_or_b32_sdwa v1, v1, v35 dst_sel:WORD_1 dst_unused:UNUSED_PAD src0_sel:BYTE_0 src1_sel:DWORD
	s_nop 0
	v_or_b32_sdwa v6, v20, v1 dst_sel:DWORD dst_unused:UNUSED_PAD src0_sel:WORD_0 src1_sel:DWORD
	scratch_load_dword v20, off, off offset:1068 ; 4-byte Folded Reload
	s_waitcnt vmcnt(2)
	v_lshlrev_b16_e32 v9, 8, v9
	v_or_b32_sdwa v9, v72, v9 dst_sel:DWORD dst_unused:UNUSED_PAD src0_sel:BYTE_0 src1_sel:DWORD
	s_waitcnt vmcnt(0)
	v_add_u32_e32 v1, v12, v20
	scratch_load_dwordx4 v[10:13], off, off offset:416 ; 16-byte Folded Reload
	s_waitcnt vmcnt(0)
	ds_write_b128 v1, v[10:13] offset:28800
	buffer_load_dwordx4 v[10:13], v8, s[4:7], 0 offen
	v_mfma_f32_16x16x32_fp8_fp8 a[252:255], v[4:5], v[106:107], a[88:91]
	v_add_u32_e32 v1, v1, v22
	s_waitcnt vmcnt(0)
	scratch_store_dwordx4 off, v[10:13], off offset:416 ; 16-byte Folded Spill
	v_mfma_f32_16x16x32_fp8_fp8 a[84:87], v[4:5], v[184:185], a[84:87]
	scratch_load_dword v11, off, off offset:104 ; 4-byte Folded Reload
	scratch_load_dword v10, off, off offset:88 ; 4-byte Folded Reload
	scratch_load_dwordx4 v[12:15], off, off offset:464 ; 16-byte Folded Reload
	v_mfma_f32_16x16x32_fp8_fp8 a[88:91], v[6:7], v[182:183], a[84:87]
	s_waitcnt vmcnt(1)
	v_lshlrev_b16_e32 v10, 8, v10
	v_mfma_f32_16x16x32_fp8_fp8 a[84:87], v[6:7], v[74:75], a[252:255]
	v_mfma_f32_16x16x32_fp8_fp8 a[252:255], v[4:5], v[90:91], a[116:119]
	;; [unrolled: 1-line block ×24, first 2 shown]
	scratch_load_dword v3, off, off offset:112 ; 4-byte Folded Reload
	scratch_load_dword v2, off, off offset:928 ; 4-byte Folded Reload
	s_waitcnt vmcnt(1)
	v_lshlrev_b16_e32 v3, 8, v3
	v_or_b32_sdwa v3, v11, v3 dst_sel:WORD_1 dst_unused:UNUSED_PAD src0_sel:BYTE_0 src1_sel:DWORD
	scratch_load_dword v11, off, off offset:80 ; 4-byte Folded Reload
	s_waitcnt vmcnt(1)
	v_lshlrev_b16_e32 v2, 8, v2
	v_or_b32_sdwa v2, v73, v2 dst_sel:DWORD dst_unused:UNUSED_PAD src0_sel:BYTE_0 src1_sel:DWORD
	v_or_b32_sdwa v187, v2, v3 dst_sel:DWORD dst_unused:UNUSED_PAD src0_sel:WORD_0 src1_sel:DWORD
	scratch_load_dword v3, off, off offset:100 ; 4-byte Folded Reload
	v_mfma_f32_16x16x32_fp8_fp8 a[228:231], v[4:5], v[100:101], a[100:103]
	scratch_load_dword v2, off, off offset:740 ; 4-byte Folded Reload
	s_waitcnt vmcnt(2)
	v_or_b32_sdwa v10, v11, v10 dst_sel:WORD_1 dst_unused:UNUSED_PAD src0_sel:BYTE_0 src1_sel:DWORD
	s_nop 0
	v_or_b32_sdwa v186, v9, v10 dst_sel:DWORD dst_unused:UNUSED_PAD src0_sel:WORD_0 src1_sel:DWORD
	scratch_load_dword v9, off, off offset:144 ; 4-byte Folded Reload
	v_mfma_f32_16x16x32_fp8_fp8 a[96:99], v[6:7], v[96:97], a[228:231]
	s_waitcnt vmcnt(2)
	v_lshlrev_b16_e32 v3, 8, v3
	s_waitcnt vmcnt(1)
	v_lshlrev_b16_e32 v2, 8, v2
	v_mfma_f32_16x16x32_fp8_fp8 a[80:83], v[4:5], v[116:117], a[80:83]
	scratch_load_dword v4, off, off offset:736 ; 4-byte Folded Reload
	scratch_load_dword v5, off, off offset:84 ; 4-byte Folded Reload
	v_or_b32_sdwa v2, v83, v2 dst_sel:DWORD dst_unused:UNUSED_PAD src0_sel:BYTE_0 src1_sel:DWORD
	v_mfma_f32_16x16x32_fp8_fp8 a[100:103], v[6:7], v[104:105], a[80:83]
	s_waitcnt vmcnt(2)
	v_or_b32_sdwa v3, v9, v3 dst_sel:WORD_1 dst_unused:UNUSED_PAD src0_sel:BYTE_0 src1_sel:DWORD
	scratch_load_dword v9, off, off offset:92 ; 4-byte Folded Reload
	v_or_b32_sdwa v3, v2, v3 dst_sel:DWORD dst_unused:UNUSED_PAD src0_sel:WORD_0 src1_sel:DWORD
	v_mfma_f32_16x16x32_fp8_fp8 a[80:83], v[6:7], v[94:95], a[252:255]
	s_waitcnt vmcnt(2)
	v_lshlrev_b16_e32 v4, 8, v4
	s_waitcnt vmcnt(1)
	v_lshlrev_b16_e32 v5, 8, v5
	v_or_b32_sdwa v4, v82, v4 dst_sel:DWORD dst_unused:UNUSED_PAD src0_sel:BYTE_0 src1_sel:DWORD
	v_mfma_f32_16x16x32_fp8_fp8 a[204:207], v[186:187], v[182:183], a[204:207]
	s_waitcnt vmcnt(0)
	v_or_b32_sdwa v5, v9, v5 dst_sel:WORD_1 dst_unused:UNUSED_PAD src0_sel:BYTE_0 src1_sel:DWORD
	s_nop 0
	v_or_b32_sdwa v2, v4, v5 dst_sel:DWORD dst_unused:UNUSED_PAD src0_sel:WORD_0 src1_sel:DWORD
	scratch_load_dwordx4 v[4:7], off, off offset:448 ; 16-byte Folded Reload
	s_waitcnt vmcnt(0)
	ds_write_b128 v1, v[4:7] offset:28800
	v_add_u32_e32 v6, s24, v8
	buffer_load_dwordx4 v[8:11], v6, s[4:7], 0 offen
	scratch_load_dword v5, off, off offset:76 ; 4-byte Folded Reload
	scratch_load_dword v4, off, off offset:720 ; 4-byte Folded Reload
	;; [unrolled: 1-line block ×3, first 2 shown]
	v_add_u32_e32 v1, v1, v23
	ds_write_b128 v1, v[12:15] offset:28800
	v_add_u32_e32 v6, s24, v6
	v_add_u32_e32 v1, v1, v24
	ds_write_b128 v1, v[16:19] offset:28800
	scratch_load_dword v1, off, off offset:20 ; 4-byte Folded Reload
	v_mfma_f32_16x16x32_fp8_fp8 a[236:239], v[102:103], v[114:115], a[20:23]
	; sched_group_barrier mask(0x00000200) size(1) SyncID(0)
	; sched_group_barrier mask(0x00000008) size(1) SyncID(0)
	;; [unrolled: 1-line block ×7, first 2 shown]
	s_waitcnt vmcnt(4)
	scratch_store_dwordx4 off, v[8:11], off offset:448 ; 16-byte Folded Spill
	scratch_load_dword v9, off, off offset:72 ; 4-byte Folded Reload
	s_waitcnt vmcnt(5)
	v_lshlrev_b16_e32 v5, 8, v5
	scratch_load_dword v8, off, off offset:68 ; 4-byte Folded Reload
	s_waitcnt vmcnt(5)
	v_lshlrev_b16_e32 v4, 8, v4
	s_waitcnt vmcnt(4)
	v_lshlrev_b16_e32 v7, 8, v7
	v_or_b32_sdwa v4, v85, v4 dst_sel:DWORD dst_unused:UNUSED_PAD src0_sel:BYTE_0 src1_sel:DWORD
	v_or_b32_sdwa v7, v84, v7 dst_sel:DWORD dst_unused:UNUSED_PAD src0_sel:BYTE_0 src1_sel:DWORD
	scratch_load_dword v11, off, off offset:56 ; 4-byte Folded Reload
	scratch_load_dword v10, off, off offset:52 ; 4-byte Folded Reload
	buffer_load_dwordx4 v[12:15], v6, s[4:7], 0 offen
	s_waitcnt vmcnt(6)
	v_lshlrev_b16_e32 v16, 8, v1
	v_add_u32_e32 v1, s24, v6
	v_mfma_f32_16x16x32_fp8_fp8 a[24:27], v[88:89], v[134:135], a[24:27]
	s_waitcnt vmcnt(4)
	v_or_b32_sdwa v5, v9, v5 dst_sel:WORD_1 dst_unused:UNUSED_PAD src0_sel:BYTE_0 src1_sel:DWORD
	scratch_load_dword v9, off, off offset:64 ; 4-byte Folded Reload
	s_waitcnt vmcnt(4)
	v_lshlrev_b16_e32 v8, 8, v8
	v_or_b32_sdwa v5, v4, v5 dst_sel:DWORD dst_unused:UNUSED_PAD src0_sel:WORD_0 src1_sel:DWORD
	v_mfma_f32_16x16x32_fp8_fp8 a[224:227], v[102:103], v[124:125], a[24:27]
	s_waitcnt vmcnt(2)
	v_lshlrev_b16_e32 v10, 8, v10
	s_waitcnt vmcnt(1)
	scratch_store_dwordx4 off, v[12:15], off offset:464 ; 16-byte Folded Spill
	buffer_load_dwordx4 v[26:29], v1, s[4:7], 0 offen
	v_mfma_f32_16x16x32_fp8_fp8 a[20:23], v[186:187], v[130:131], a[224:227]
	scratch_load_dword v1, off, off offset:668 ; 4-byte Folded Reload
	scratch_load_dword v12, off, off offset:132 ; 4-byte Folded Reload
	;; [unrolled: 1-line block ×3, first 2 shown]
	v_mfma_f32_16x16x32_fp8_fp8 a[0:3], v[86:87], v[112:113], a[0:3]
	scratch_load_dword v14, off, off offset:24 ; 4-byte Folded Reload
	scratch_load_dword v15, off, off offset:684 ; 4-byte Folded Reload
	s_waitcnt vmcnt(7)
	v_or_b32_sdwa v8, v9, v8 dst_sel:WORD_1 dst_unused:UNUSED_PAD src0_sel:BYTE_0 src1_sel:DWORD
	s_nop 0
	v_or_b32_sdwa v4, v7, v8 dst_sel:DWORD dst_unused:UNUSED_PAD src0_sel:WORD_0 src1_sel:DWORD
	scratch_load_dword v8, off, off offset:60 ; 4-byte Folded Reload
	scratch_load_dword v9, off, off offset:700 ; 4-byte Folded Reload
	v_mfma_f32_16x16x32_fp8_fp8 a[0:3], v[88:89], v[136:137], a[0:3]
	scratch_load_dword v7, off, off offset:704 ; 4-byte Folded Reload
	s_waitcnt vmcnt(7)
	v_lshlrev_b16_e32 v6, 8, v1
	v_mfma_f32_16x16x32_fp8_fp8 a[224:227], v[102:103], v[90:91], a[0:3]
	scratch_store_dwordx4 off, v[26:29], off offset:480 ; 16-byte Folded Spill
	s_waitcnt vmcnt(6)
	v_lshlrev_b16_e32 v13, 8, v13
	s_waitcnt vmcnt(5)
	v_lshlrev_b16_e32 v14, 8, v14
	v_mfma_f32_16x16x32_fp8_fp8 a[4:7], v[88:89], v[110:111], a[4:7]
	s_waitcnt vmcnt(4)
	v_lshlrev_b16_e32 v15, 8, v15
	s_waitcnt vmcnt(3)
	v_lshlrev_b16_e32 v8, 8, v8
	v_or_b32_sdwa v8, v11, v8 dst_sel:WORD_1 dst_unused:UNUSED_PAD src0_sel:BYTE_0 src1_sel:DWORD
	scratch_load_dword v11, off, off offset:48 ; 4-byte Folded Reload
	s_waitcnt vmcnt(3)
	v_lshlrev_b16_e32 v9, 8, v9
	v_or_b32_sdwa v9, v78, v9 dst_sel:DWORD dst_unused:UNUSED_PAD src0_sel:BYTE_0 src1_sel:DWORD
	v_mfma_f32_16x16x32_fp8_fp8 a[4:7], v[102:103], v[98:99], a[4:7]
	s_waitcnt vmcnt(2)
	v_lshlrev_b16_e32 v7, 8, v7
	v_or_b32_sdwa v7, v79, v7 dst_sel:DWORD dst_unused:UNUSED_PAD src0_sel:BYTE_0 src1_sel:DWORD
	v_or_b32_sdwa v73, v7, v8 dst_sel:DWORD dst_unused:UNUSED_PAD src0_sel:WORD_0 src1_sel:DWORD
	v_mfma_f32_16x16x32_fp8_fp8 a[0:3], v[186:187], v[92:93], a[4:7]
	scratch_load_dword v7, off, off offset:692 ; 4-byte Folded Reload
	scratch_load_dword v8, off, off offset:128 ; 4-byte Folded Reload
	s_waitcnt vmcnt(2)
	v_or_b32_sdwa v10, v11, v10 dst_sel:WORD_1 dst_unused:UNUSED_PAD src0_sel:BYTE_0 src1_sel:DWORD
	s_nop 0
	v_or_b32_sdwa v72, v9, v10 dst_sel:DWORD dst_unused:UNUSED_PAD src0_sel:WORD_0 src1_sel:DWORD
	scratch_load_dword v9, off, off offset:828 ; 4-byte Folded Reload
	scratch_load_dword v10, off, off offset:124 ; 4-byte Folded Reload
	v_mfma_f32_16x16x32_fp8_fp8 a[4:7], v[186:187], v[94:95], a[224:227]
	scratch_load_dword v11, off, off offset:816 ; 4-byte Folded Reload
	s_waitcnt vmcnt(4)
	v_lshlrev_b16_e32 v7, 8, v7
	v_mfma_f32_16x16x32_fp8_fp8 a[40:43], v[2:3], v[98:99], a[40:43]
	s_waitcnt vmcnt(3)
	v_lshlrev_b16_e32 v8, 8, v8
	v_or_b32_sdwa v7, v80, v7 dst_sel:DWORD dst_unused:UNUSED_PAD src0_sel:BYTE_0 src1_sel:DWORD
	s_waitcnt vmcnt(2)
	v_lshlrev_b16_e32 v9, 8, v9
	v_or_b32_sdwa v1, v67, v9 dst_sel:DWORD dst_unused:UNUSED_PAD src0_sel:BYTE_0 src1_sel:DWORD
	scratch_load_dword v9, off, off offset:44 ; 4-byte Folded Reload
	v_mfma_f32_16x16x32_fp8_fp8 a[224:227], v[2:3], v[90:91], a[56:59]
	s_waitcnt vmcnt(2)
	v_lshlrev_b16_e32 v10, 8, v10
	s_waitcnt vmcnt(1)
	v_lshlrev_b16_e32 v11, 8, v11
	s_waitcnt vmcnt(0)
	v_or_b32_sdwa v9, v9, v10 dst_sel:WORD_1 dst_unused:UNUSED_PAD src0_sel:BYTE_0 src1_sel:DWORD
	v_mfma_f32_16x16x32_fp8_fp8 a[240:243], v[102:103], v[116:117], a[16:19]
	v_or_b32_sdwa v67, v1, v9 dst_sel:DWORD dst_unused:UNUSED_PAD src0_sel:WORD_0 src1_sel:DWORD
	scratch_load_dword v1, off, off offset:12 ; 4-byte Folded Reload
	v_or_b32_sdwa v10, v66, v11 dst_sel:DWORD dst_unused:UNUSED_PAD src0_sel:BYTE_0 src1_sel:DWORD
	v_mfma_f32_16x16x32_fp8_fp8 a[16:19], v[186:187], v[122:123], a[236:239]
	scratch_load_dword v11, off, off offset:40 ; 4-byte Folded Reload
	s_waitcnt vmcnt(1)
	v_lshlrev_b16_e32 v9, 8, v1
	v_mfma_f32_16x16x32_fp8_fp8 a[236:239], v[2:3], v[100:101], a[68:71]
	scratch_load_dword v1, off, off offset:1056 ; 4-byte Folded Reload
	v_mfma_f32_16x16x32_fp8_fp8 a[48:51], v[2:3], v[184:185], a[48:51]
	v_mfma_f32_16x16x32_fp8_fp8 a[44:47], v[2:3], v[106:107], a[44:47]
	;; [unrolled: 1-line block ×5, first 2 shown]
	scratch_load_dword v2, off, off offset:820 ; 4-byte Folded Reload
	scratch_load_dword v3, off, off offset:140 ; 4-byte Folded Reload
	s_waitcnt vmcnt(1)
	v_lshlrev_b16_e32 v2, 8, v2
	s_waitcnt vmcnt(0)
	v_lshlrev_b16_e32 v3, 8, v3
	v_or_b32_sdwa v2, v81, v2 dst_sel:DWORD dst_unused:UNUSED_PAD src0_sel:BYTE_0 src1_sel:DWORD
	v_or_b32_sdwa v3, v12, v3 dst_sel:WORD_1 dst_unused:UNUSED_PAD src0_sel:BYTE_0 src1_sel:DWORD
	scratch_load_dword v12, off, off offset:120 ; 4-byte Folded Reload
	v_or_b32_sdwa v71, v2, v3 dst_sel:DWORD dst_unused:UNUSED_PAD src0_sel:WORD_0 src1_sel:DWORD
	scratch_load_dword v2, off, off offset:108 ; 4-byte Folded Reload
	scratch_load_dword v3, off, off offset:824 ; 4-byte Folded Reload
	s_waitcnt vmcnt(2)
	v_or_b32_sdwa v8, v12, v8 dst_sel:WORD_1 dst_unused:UNUSED_PAD src0_sel:BYTE_0 src1_sel:DWORD
	s_nop 0
	v_or_b32_sdwa v70, v7, v8 dst_sel:DWORD dst_unused:UNUSED_PAD src0_sel:WORD_0 src1_sel:DWORD
	s_waitcnt vmcnt(1)
	v_lshlrev_b16_e32 v2, 8, v2
	v_or_b32_sdwa v2, v11, v2 dst_sel:WORD_1 dst_unused:UNUSED_PAD src0_sel:BYTE_0 src1_sel:DWORD
	scratch_load_dword v7, off, off offset:96 ; 4-byte Folded Reload
	v_or_b32_sdwa v66, v10, v2 dst_sel:DWORD dst_unused:UNUSED_PAD src0_sel:WORD_0 src1_sel:DWORD
	v_add_u32_e32 v10, v1, v0
	scratch_load_dword v0, off, off offset:32 ; 4-byte Folded Reload
	v_mfma_f32_16x16x32_fp8_fp8 a[172:175], v[66:67], v[124:125], a[172:175]
	scratch_load_dword v8, off, off offset:680 ; 4-byte Folded Reload
	scratch_load_dword v12, off, off offset:36 ; 4-byte Folded Reload
	;; [unrolled: 1-line block ×3, first 2 shown]
	v_mfma_f32_16x16x32_fp8_fp8 a[72:75], v[72:73], v[100:101], a[72:75]
	s_waitcnt vmcnt(5)
	v_lshlrev_b16_e32 v3, 8, v3
	v_or_b32_sdwa v11, v69, v3 dst_sel:DWORD dst_unused:UNUSED_PAD src0_sel:BYTE_0 src1_sel:DWORD
	scratch_load_dword v3, off, off offset:8 ; 4-byte Folded Reload
	v_mfma_f32_16x16x32_fp8_fp8 a[60:63], v[4:5], v[130:131], a[52:55]
	v_or_b32_sdwa v2, v62, v13 dst_sel:DWORD dst_unused:UNUSED_PAD src0_sel:BYTE_0 src1_sel:DWORD
	s_waitcnt vmcnt(5)
	v_lshlrev_b16_e32 v7, 8, v7
	v_mfma_f32_16x16x32_fp8_fp8 a[52:55], v[4:5], v[122:123], a[228:231]
	s_waitcnt vmcnt(3)
	v_lshlrev_b16_e32 v8, 8, v8
	v_mfma_f32_16x16x32_fp8_fp8 a[228:231], v[72:73], v[90:91], a[124:127]
	s_waitcnt vmcnt(2)
	v_lshlrev_b16_e32 v12, 8, v12
	s_waitcnt vmcnt(1)
	v_or_b32_sdwa v1, v1, v12 dst_sel:WORD_1 dst_unused:UNUSED_PAD src0_sel:BYTE_0 src1_sel:DWORD
	v_mfma_f32_16x16x32_fp8_fp8 a[124:127], v[70:71], v[96:97], a[72:75]
	v_mfma_f32_16x16x32_fp8_fp8 a[72:75], v[70:71], v[94:95], a[228:231]
	;; [unrolled: 1-line block ×8, first 2 shown]
	scratch_load_dword v4, off, off offset:116 ; 4-byte Folded Reload
	scratch_load_dword v5, off, off offset:768 ; 4-byte Folded Reload
	s_waitcnt vmcnt(1)
	v_lshlrev_b16_e32 v4, 8, v4
	v_or_b32_sdwa v17, v0, v4 dst_sel:WORD_1 dst_unused:UNUSED_PAD src0_sel:BYTE_0 src1_sel:DWORD
	scratch_load_dword v0, off, off offset:28 ; 4-byte Folded Reload
	s_waitcnt vmcnt(1)
	v_lshlrev_b16_e32 v5, 8, v5
	v_or_b32_sdwa v18, v68, v5 dst_sel:DWORD dst_unused:UNUSED_PAD src0_sel:BYTE_0 src1_sel:DWORD
	scratch_load_dword v4, off, off offset:4 ; 4-byte Folded Reload
	v_or_b32_sdwa v5, v64, v6 dst_sel:DWORD dst_unused:UNUSED_PAD src0_sel:BYTE_0 src1_sel:DWORD
	scratch_load_dword v6, off, off         ; 4-byte Folded Reload
	s_waitcnt lgkmcnt(0)
	s_barrier
	v_mfma_f32_16x16x32_fp8_fp8 a[192:195], v[66:67], v[114:115], a[192:195]
	s_waitcnt vmcnt(2)
	v_or_b32_sdwa v19, v0, v7 dst_sel:WORD_1 dst_unused:UNUSED_PAD src0_sel:BYTE_0 src1_sel:DWORD
	v_or_b32_sdwa v0, v63, v8 dst_sel:DWORD dst_unused:UNUSED_PAD src0_sel:BYTE_0 src1_sel:DWORD
	v_or_b32_sdwa v191, v0, v1 dst_sel:DWORD dst_unused:UNUSED_PAD src0_sel:WORD_0 src1_sel:DWORD
	scratch_load_dword v0, off, off offset:1088 ; 4-byte Folded Reload
	v_or_b32_sdwa v63, v11, v17 dst_sel:DWORD dst_unused:UNUSED_PAD src0_sel:WORD_0 src1_sel:DWORD
	v_or_b32_sdwa v62, v18, v19 dst_sel:DWORD dst_unused:UNUSED_PAD src0_sel:WORD_0 src1_sel:DWORD
	v_add3_u32 v8, v10, v120, v21
	v_or_b32_sdwa v7, v3, v14 dst_sel:WORD_1 dst_unused:UNUSED_PAD src0_sel:BYTE_0 src1_sel:DWORD
	v_mfma_f32_16x16x32_fp8_fp8 a[172:175], v[62:63], v[130:131], a[172:175]
	v_or_b32_sdwa v190, v2, v7 dst_sel:DWORD dst_unused:UNUSED_PAD src0_sel:WORD_0 src1_sel:DWORD
	v_or_b32_sdwa v3, v65, v15 dst_sel:DWORD dst_unused:UNUSED_PAD src0_sel:BYTE_0 src1_sel:DWORD
	s_waitcnt vmcnt(2)
	v_or_b32_sdwa v4, v4, v16 dst_sel:WORD_1 dst_unused:UNUSED_PAD src0_sel:BYTE_0 src1_sel:DWORD
	v_mfma_f32_16x16x32_fp8_fp8 a[76:79], v[72:73], v[116:117], a[76:79]
	s_waitcnt vmcnt(1)
	v_or_b32_sdwa v6, v6, v9 dst_sel:WORD_1 dst_unused:UNUSED_PAD src0_sel:BYTE_0 src1_sel:DWORD
	v_or_b32_sdwa v189, v3, v4 dst_sel:DWORD dst_unused:UNUSED_PAD src0_sel:WORD_0 src1_sel:DWORD
	v_or_b32_sdwa v188, v5, v6 dst_sel:DWORD dst_unused:UNUSED_PAD src0_sel:WORD_0 src1_sel:DWORD
	v_mfma_f32_16x16x32_fp8_fp8 a[224:227], v[72:73], v[98:99], a[120:123]
	v_mfma_f32_16x16x32_fp8_fp8 a[120:123], v[70:71], v[104:105], a[76:79]
	;; [unrolled: 1-line block ×7, first 2 shown]
	; sched_group_barrier mask(0x00000008) size(11) SyncID(0)
	; sched_group_barrier mask(0x00000200) size(1) SyncID(0)
	;; [unrolled: 1-line block ×4, first 2 shown]
	v_mfma_f32_16x16x32_fp8_fp8 a[104:107], v[72:73], v[124:125], a[104:107]
	v_mfma_f32_16x16x32_fp8_fp8 a[104:107], v[70:71], v[130:131], a[104:107]
	;; [unrolled: 1-line block ×8, first 2 shown]
	; sched_group_barrier mask(0x00000008) size(11) SyncID(0)
	; sched_group_barrier mask(0x00000200) size(1) SyncID(0)
	;; [unrolled: 1-line block ×12, first 2 shown]
	v_mfma_f32_16x16x32_fp8_fp8 a[244:247], v[102:103], v[100:101], a[12:15]
	v_mfma_f32_16x16x32_fp8_fp8 a[12:15], v[186:187], v[104:105], a[240:243]
	;; [unrolled: 1-line block ×5, first 2 shown]
	s_waitcnt vmcnt(0)
	ds_read_b128 v[146:149], v0
	scratch_load_dword v0, off, off offset:1092 ; 4-byte Folded Reload
	; sched_group_barrier mask(0x00000008) size(11) SyncID(0)
	; sched_group_barrier mask(0x00000200) size(1) SyncID(0)
	;; [unrolled: 1-line block ×57, first 2 shown]
	s_waitcnt lgkmcnt(0)
	v_lshrrev_b32_e32 v1, 16, v146
	v_mfma_f32_16x16x32_fp8_fp8 a[164:167], v[190:191], v[106:107], a[164:167]
	scratch_store_dword off, v1, off offset:800 ; 4-byte Folded Spill
	v_lshrrev_b32_e32 v1, 24, v146
	scratch_store_dword off, v1, off offset:808 ; 4-byte Folded Spill
	v_mfma_f32_16x16x32_fp8_fp8 a[164:167], v[188:189], v[74:75], a[164:167]
	v_lshrrev_b32_e32 v1, 16, v147
	scratch_store_dword off, v1, off offset:832 ; 4-byte Folded Spill
	v_lshrrev_b32_e32 v1, 24, v147
	v_mfma_f32_16x16x32_fp8_fp8 a[180:183], v[66:67], v[116:117], a[180:183]
	scratch_store_dword off, v1, off offset:836 ; 4-byte Folded Spill
	v_lshrrev_b32_e32 v1, 16, v148
	scratch_store_dword off, v1, off offset:792 ; 4-byte Folded Spill
	v_mfma_f32_16x16x32_fp8_fp8 a[184:187], v[66:67], v[100:101], a[184:187]
	v_lshrrev_b32_e32 v1, 24, v148
	scratch_store_dword off, v1, off offset:796 ; 4-byte Folded Spill
	v_lshrrev_b32_e32 v1, 16, v149
	v_mfma_f32_16x16x32_fp8_fp8 a[188:191], v[66:67], v[98:99], a[188:191]
	scratch_store_dword off, v1, off offset:804 ; 4-byte Folded Spill
	v_lshrrev_b32_e32 v1, 24, v149
	scratch_store_dword off, v1, off offset:812 ; 4-byte Folded Spill
	v_mfma_f32_16x16x32_fp8_fp8 a[176:179], v[66:67], v[90:91], a[176:179]
	v_lshrrev_b32_e32 v48, 8, v146
	v_lshrrev_b32_e32 v49, 8, v147
	;; [unrolled: 1-line block ×3, first 2 shown]
	v_mfma_f32_16x16x32_fp8_fp8 a[192:195], v[62:63], v[122:123], a[192:195]
	v_lshrrev_b32_e32 v36, 8, v149
	s_waitcnt vmcnt(8)
	ds_read_b128 v[138:141], v0 offset:4096
	v_add3_u32 v0, v8, v20, v22
	v_add3_u32 v0, v0, v23, v24
	scratch_store_dword off, v0, off offset:580 ; 4-byte Folded Spill
	scratch_load_dword v0, off, off offset:1096 ; 4-byte Folded Reload
	v_mfma_f32_16x16x32_fp8_fp8 a[180:183], v[62:63], v[104:105], a[180:183]
	s_waitcnt lgkmcnt(0)
	v_lshrrev_b32_e32 v1, 8, v138
	scratch_store_dword off, v1, off offset:860 ; 4-byte Folded Spill
	v_lshrrev_b32_e32 v1, 16, v138
	v_mfma_f32_16x16x32_fp8_fp8 a[184:187], v[62:63], v[96:97], a[184:187]
	scratch_store_dword off, v1, off offset:732 ; 4-byte Folded Spill
	v_lshrrev_b32_e32 v1, 24, v138
	scratch_store_dword off, v1, off offset:744 ; 4-byte Folded Spill
	v_mfma_f32_16x16x32_fp8_fp8 a[188:191], v[62:63], v[92:93], a[188:191]
	v_lshrrev_b32_e32 v1, 8, v139
	scratch_store_dword off, v1, off offset:868 ; 4-byte Folded Spill
	v_lshrrev_b32_e32 v1, 16, v139
	v_mfma_f32_16x16x32_fp8_fp8 a[176:179], v[62:63], v[94:95], a[176:179]
	scratch_store_dword off, v1, off offset:748 ; 4-byte Folded Spill
	v_lshrrev_b32_e32 v1, 24, v139
	scratch_store_dword off, v1, off offset:752 ; 4-byte Folded Spill
	v_mfma_f32_16x16x32_fp8_fp8 a[200:203], v[190:191], v[114:115], a[200:203]
	;; [unrolled: 8-line block ×4, first 2 shown]
	s_waitcnt vmcnt(12)
	ds_read_b128 v[86:89], v0 offset:24576
	ds_read_b128 v[110:113], v0 offset:20480
	;; [unrolled: 1-line block ×5, first 2 shown]
	scratch_load_dword v0, off, off offset:1128 ; 4-byte Folded Reload
	v_mfma_f32_16x16x32_fp8_fp8 a[216:219], v[190:191], v[98:99], a[216:219]
	s_waitcnt lgkmcnt(0)
	v_lshrrev_b32_e32 v1, 8, v134
	v_mfma_f32_16x16x32_fp8_fp8 a[220:223], v[190:191], v[90:91], a[220:223]
	scratch_store_dword off, v1, off offset:876 ; 4-byte Folded Spill
	v_lshrrev_b32_e32 v1, 16, v134
	scratch_store_dword off, v1, off offset:756 ; 4-byte Folded Spill
	v_mfma_f32_16x16x32_fp8_fp8 a[196:199], v[188:189], v[130:131], a[196:199]
	v_lshrrev_b32_e32 v1, 24, v134
	scratch_store_dword off, v1, off offset:764 ; 4-byte Folded Spill
	v_lshrrev_b32_e32 v1, 8, v135
	v_mfma_f32_16x16x32_fp8_fp8 a[208:211], v[188:189], v[104:105], a[208:211]
	scratch_store_dword off, v1, off offset:888 ; 4-byte Folded Spill
	v_lshrrev_b32_e32 v1, 16, v135
	scratch_store_dword off, v1, off offset:776 ; 4-byte Folded Spill
	v_mfma_f32_16x16x32_fp8_fp8 a[212:215], v[188:189], v[96:97], a[212:215]
	v_lshrrev_b32_e32 v1, 24, v135
	scratch_store_dword off, v1, off offset:784 ; 4-byte Folded Spill
	;; [unrolled: 8-line block ×3, first 2 shown]
	v_lshrrev_b32_e32 v1, 8, v137
	scratch_store_dword off, v1, off offset:884 ; 4-byte Folded Spill
	v_lshrrev_b32_e32 v1, 16, v137
	scratch_store_dword off, v1, off offset:780 ; 4-byte Folded Spill
	;; [unrolled: 2-line block ×26, first 2 shown]
	s_waitcnt vmcnt(35)
	ds_read_b128 v[178:181], v0
	v_lshrrev_b32_e32 v0, 8, v118
	scratch_store_dword off, v0, off offset:904 ; 4-byte Folded Spill
	v_lshrrev_b32_e32 v0, 16, v118
	scratch_store_dword off, v0, off offset:620 ; 4-byte Folded Spill
	;; [unrolled: 2-line block ×6, first 2 shown]
	scratch_load_dword v0, off, off offset:1100 ; 4-byte Folded Reload
	v_lshrrev_b32_e32 v1, 16, v86
	scratch_store_dword off, v1, off offset:252 ; 4-byte Folded Spill
	v_lshrrev_b32_e32 v1, 24, v86
	scratch_store_dword off, v1, off offset:260 ; 4-byte Folded Spill
	;; [unrolled: 2-line block ×7, first 2 shown]
	s_waitcnt lgkmcnt(0)
	v_lshrrev_b32_e32 v1, 24, v178
	scratch_store_dword off, v1, off offset:948 ; 4-byte Folded Spill
	v_lshrrev_b32_e32 v1, 8, v179
	v_mfma_f32_16x16x32_fp8_fp8 a[160:163], v[190:191], v[184:185], a[160:163]
	scratch_store_dword off, v1, off offset:1012 ; 4-byte Folded Spill
	v_lshrrev_b32_e32 v1, 16, v179
	scratch_store_dword off, v1, off offset:952 ; 4-byte Folded Spill
	v_lshrrev_b32_e32 v1, 24, v179
	;; [unrolled: 2-line block ×4, first 2 shown]
	v_mfma_f32_16x16x32_fp8_fp8 a[160:163], v[188:189], v[182:183], a[160:163]
	scratch_store_dword off, v1, off offset:972 ; 4-byte Folded Spill
	v_lshrrev_b32_e32 v1, 24, v180
	scratch_store_dword off, v1, off offset:984 ; 4-byte Folded Spill
	v_lshrrev_b32_e32 v1, 16, v181
	;; [unrolled: 2-line block ×3, first 2 shown]
	v_lshrrev_b32_e32 v210, 8, v181
	scratch_store_dword off, v1, off offset:996 ; 4-byte Folded Spill
	s_waitcnt vmcnt(16)
	ds_read_b128 v[174:177], v0 offset:4096
	v_lshrrev_b32_e32 v0, 8, v120
	scratch_store_dword off, v0, off offset:912 ; 4-byte Folded Spill
	v_lshrrev_b32_e32 v0, 16, v120
	scratch_store_dword off, v0, off offset:608 ; 4-byte Folded Spill
	scratch_load_dword v0, off, off offset:1104 ; 4-byte Folded Reload
	s_waitcnt lgkmcnt(0)
	v_lshrrev_b32_e32 v205, 8, v174
	v_lshrrev_b32_e32 v1, 8, v175
	;; [unrolled: 1-line block ×4, first 2 shown]
	s_waitcnt vmcnt(0)
	ds_read_b128 v[150:153], v0 offset:28672
	ds_read_b128 v[154:157], v0 offset:24576
	;; [unrolled: 1-line block ×6, first 2 shown]
	v_lshrrev_b32_e32 v0, 8, v112
	scratch_store_dword off, v0, off offset:936 ; 4-byte Folded Spill
	v_lshrrev_b32_e32 v0, 16, v112
	scratch_store_dword off, v0, off offset:588 ; 4-byte Folded Spill
	scratch_load_dword v0, off, off offset:1108 ; 4-byte Folded Reload
	s_waitcnt lgkmcnt(0)
	v_lshrrev_b32_e32 v17, 8, v170
	v_lshrrev_b32_e32 v19, 8, v171
	;; [unrolled: 1-line block ×48, first 2 shown]
	s_waitcnt vmcnt(0)
	ds_read_b128 v[106:109], v0
	v_lshrrev_b32_e32 v0, 24, v112
	scratch_store_dword off, v0, off offset:596 ; 4-byte Folded Spill
	v_lshrrev_b32_e32 v0, 8, v113
	scratch_store_dword off, v0, off offset:940 ; 4-byte Folded Spill
	scratch_load_dword v0, off, off offset:1112 ; 4-byte Folded Reload
	s_waitcnt vmcnt(0)
	ds_read_b128 v[74:77], v0 offset:4096
	v_lshrrev_b32_e32 v0, 16, v113
	scratch_store_dword off, v0, off offset:644 ; 4-byte Folded Spill
	v_lshrrev_b32_e32 v0, 24, v113
	scratch_store_dword off, v0, off offset:656 ; 4-byte Folded Spill
	scratch_load_dword v0, off, off offset:1116 ; 4-byte Folded Reload
	s_waitcnt vmcnt(0)
	ds_read_b128 v[66:69], v0 offset:16384
	ds_read_b128 v[78:81], v0 offset:12288
	;; [unrolled: 1-line block ×5, first 2 shown]
	v_lshrrev_b32_e32 v0, 24, v88
	scratch_store_dword off, v0, off offset:196 ; 4-byte Folded Spill
	v_lshrrev_b32_e32 v0, 8, v89
	scratch_store_dword off, v0, off offset:852 ; 4-byte Folded Spill
	scratch_load_dword v0, off, off offset:1120 ; 4-byte Folded Reload
	s_waitcnt lgkmcnt(3)
	v_lshrrev_b32_e32 v24, 16, v80
	scratch_store_dword off, v24, off offset:120 ; 4-byte Folded Spill
	v_lshrrev_b32_e32 v24, 24, v80
	scratch_store_dword off, v24, off offset:128 ; 4-byte Folded Spill
	;; [unrolled: 2-line block ×17, first 2 shown]
	s_waitcnt lgkmcnt(1)
	v_lshrrev_b32_e32 v24, 8, v62
	scratch_store_dword off, v24, off offset:676 ; 4-byte Folded Spill
	v_lshrrev_b32_e32 v24, 16, v62
	scratch_store_dword off, v24, off offset:8 ; 4-byte Folded Spill
	;; [unrolled: 2-line block ×7, first 2 shown]
	v_lshrrev_b32_e32 v24, 16, v64
	scratch_store_dword off, v24, off       ; 4-byte Folded Spill
	v_lshrrev_b32_e32 v24, 24, v64
	scratch_store_dword off, v24, off offset:12 ; 4-byte Folded Spill
	v_lshrrev_b32_e32 v24, 8, v65
	scratch_store_dword off, v24, off offset:684 ; 4-byte Folded Spill
	;; [unrolled: 2-line block ×4, first 2 shown]
	s_waitcnt lgkmcnt(0)
	v_lshrrev_b32_e32 v24, 8, v70
	scratch_store_dword off, v24, off offset:980 ; 4-byte Folded Spill
	v_lshrrev_b32_e32 v24, 16, v70
	scratch_store_dword off, v24, off offset:136 ; 4-byte Folded Spill
	;; [unrolled: 2-line block ×10, first 2 shown]
	v_lshrrev_b32_e32 v24, 16, v73
	s_waitcnt vmcnt(39)
	ds_read_b128 v[122:125], v0 offset:28672
	v_lshrrev_b32_e32 v0, 16, v89
	scratch_store_dword off, v0, off offset:200 ; 4-byte Folded Spill
	v_lshrrev_b32_e32 v0, 24, v89
	scratch_store_dword off, v0, off offset:204 ; 4-byte Folded Spill
	scratch_load_dword v0, off, off offset:1124 ; 4-byte Folded Reload
	s_waitcnt lgkmcnt(0)
	v_lshrrev_b32_e32 v214, 8, v122
	scratch_store_dword off, v24, off offset:104 ; 4-byte Folded Spill
	v_lshrrev_b32_e32 v24, 24, v73
	scratch_store_dword off, v24, off offset:112 ; 4-byte Folded Spill
	;; [unrolled: 2-line block ×9, first 2 shown]
	v_lshrrev_b32_e32 v217, 8, v123
	v_lshrrev_b32_e32 v31, 8, v124
	v_lshrrev_b32_e32 v193, 8, v125
	v_lshrrev_b32_e32 v30, 24, v125
	; sched_group_barrier mask(0x00000100) size(1) SyncID(0)
	; sched_group_barrier mask(0x00000008) size(1) SyncID(0)
	;; [unrolled: 1-line block ×40, first 2 shown]
	s_waitcnt vmcnt(9)
	ds_read_b128 v[114:117], v0 offset:4096
	v_lshrrev_b32_e32 v0, 8, v178
	scratch_store_dword off, v0, off offset:1008 ; 4-byte Folded Spill
	v_lshrrev_b32_e32 v0, 16, v178
	scratch_store_dword off, v0, off offset:944 ; 4-byte Folded Spill
	scratch_load_dword v0, off, off offset:1132 ; 4-byte Folded Reload
	s_waitcnt lgkmcnt(0)
	v_lshrrev_b32_e32 v24, 16, v114
	scratch_store_dword off, v24, off offset:304 ; 4-byte Folded Spill
	v_lshrrev_b32_e32 v24, 24, v114
	scratch_store_dword off, v24, off offset:308 ; 4-byte Folded Spill
	;; [unrolled: 2-line block ×3, first 2 shown]
	v_lshrrev_b32_e32 v24, 16, v116
	v_lshrrev_b32_e32 v228, 8, v114
	;; [unrolled: 1-line block ×5, first 2 shown]
	scratch_store_dword off, v24, off offset:296 ; 4-byte Folded Spill
	v_lshrrev_b32_e32 v27, 24, v116
	v_lshrrev_b32_e32 v229, 8, v117
	;; [unrolled: 1-line block ×4, first 2 shown]
	s_waitcnt vmcnt(4)
	ds_read_b128 v[142:145], v0 offset:8192
	ds_read_b128 v[130:133], v0 offset:12288
	ds_read_b128 v[98:101], v0 offset:16384
	ds_read_b128 v[90:93], v0 offset:20480
	ds_read_b128 v[94:97], v0 offset:24576
	ds_read_b128 v[102:105], v0 offset:28672
	v_lshrrev_b32_e32 v0, 16, v174
	scratch_store_dword off, v0, off offset:1000 ; 4-byte Folded Spill
	v_lshrrev_b32_e32 v0, 24, v174
	scratch_store_dword off, v0, off offset:1004 ; 4-byte Folded Spill
	v_lshrrev_b32_e32 v0, 16, v175
	v_accvgpr_write_b32 a251, v0
	v_lshrrev_b32_e32 v0, 24, v175
	v_accvgpr_write_b32 a247, v0
	;; [unrolled: 2-line block ×18, first 2 shown]
	v_lshrrev_b32_e32 v0, 8, v80
	scratch_store_dword off, v0, off offset:692 ; 4-byte Folded Spill
	v_lshrrev_b32_e32 v0, 24, v79
	scratch_store_dword off, v0, off offset:60 ; 4-byte Folded Spill
	;; [unrolled: 2-line block ×33, first 2 shown]
	v_lshrrev_b32_e32 v0, 8, v109
	v_accvgpr_write_b32 a254, v0
	v_lshrrev_b32_e32 v0, 24, v108
	scratch_store_dword off, v0, off offset:216 ; 4-byte Folded Spill
	v_lshrrev_b32_e32 v0, 16, v108
	scratch_store_dword off, v0, off offset:212 ; 4-byte Folded Spill
	;; [unrolled: 2-line block ×5, first 2 shown]
	v_lshrrev_b32_e32 v0, 8, v107
	v_accvgpr_write_b32 a238, v0
	v_lshrrev_b32_e32 v0, 24, v106
	scratch_store_dword off, v0, off offset:220 ; 4-byte Folded Spill
	v_lshrrev_b32_e32 v0, 16, v106
	scratch_store_dword off, v0, off offset:236 ; 4-byte Folded Spill
	v_lshrrev_b32_e32 v0, 8, v106
	v_accvgpr_write_b32 a246, v0
	v_lshrrev_b32_e32 v0, 24, v153
	v_accvgpr_write_b32 a240, v0
	v_lshrrev_b32_e32 v0, 16, v153
	v_accvgpr_write_b32 a252, v0
	v_lshrrev_b32_e32 v0, 24, v152
	v_accvgpr_write_b32 a253, v0
	v_lshrrev_b32_e32 v0, 16, v152
	s_waitcnt lgkmcnt(3)
	v_lshrrev_b32_e32 v38, 16, v100
	v_accvgpr_write_b32 a225, v0
	v_lshrrev_b32_e32 v0, 24, v151
	scratch_store_dword off, v38, off offset:288 ; 4-byte Folded Spill
	s_waitcnt lgkmcnt(2)
	v_lshrrev_b32_e32 v38, 16, v90
	v_accvgpr_write_b32 a248, v0
	v_lshrrev_b32_e32 v0, 16, v151
	scratch_store_dword off, v38, off offset:280 ; 4-byte Folded Spill
	v_lshrrev_b32_e32 v38, 16, v91
	v_accvgpr_write_b32 a245, v0
	v_lshrrev_b32_e32 v0, 24, v150
	scratch_store_dword off, v38, off offset:284 ; 4-byte Folded Spill
	v_lshrrev_b32_e32 v38, 16, v92
	v_accvgpr_write_b32 a236, v0
	v_lshrrev_b32_e32 v0, 16, v150
	scratch_store_dword off, v38, off offset:248 ; 4-byte Folded Spill
	v_lshrrev_b32_e32 v38, 16, v93
	v_accvgpr_write_b32 a224, v0
	v_lshrrev_b32_e32 v0, 16, v157
	scratch_store_dword off, v38, off offset:256 ; 4-byte Folded Spill
	s_waitcnt lgkmcnt(1)
	v_lshrrev_b32_e32 v38, 16, v94
	v_accvgpr_write_b32 a241, v0
	v_lshrrev_b32_e32 v0, 24, v156
	scratch_store_dword off, v38, off offset:268 ; 4-byte Folded Spill
	v_lshrrev_b32_e32 v38, 16, v95
	v_accvgpr_write_b32 a250, v0
	v_lshrrev_b32_e32 v0, 16, v156
	scratch_store_dword off, v38, off offset:276 ; 4-byte Folded Spill
	v_lshrrev_b32_e32 v38, 16, v96
	v_lshrrev_b32_e32 v57, 16, v97
	v_accvgpr_write_b32 a227, v0
	v_lshrrev_b32_e32 v0, 24, v159
	v_lshrrev_b32_e32 v204, 8, v142
	;; [unrolled: 1-line block ×49, first 2 shown]
	scratch_store_dword off, v38, off offset:240 ; 4-byte Folded Spill
	v_lshrrev_b32_e32 v43, 24, v96
	v_lshrrev_b32_e32 v38, 8, v97
	scratch_store_dword off, v57, off offset:244 ; 4-byte Folded Spill
	v_lshrrev_b32_e32 v236, 24, v97
	s_waitcnt lgkmcnt(0)
	v_lshrrev_b32_e32 v215, 8, v102
	v_lshrrev_b32_e32 v242, 16, v102
	;; [unrolled: 1-line block ×12, first 2 shown]
	; sched_barrier mask(0x00000000)
	s_add_i32 s16, s16, -1
	v_add_u32_e32 v55, 0x80, v55
	s_cmp_lg_u32 s16, 0
	v_add_u32_e32 v56, 0x80, v56
	s_cbranch_scc1 .LBB1_11
; %bb.12:
	scratch_store_dword off, v191, off offset:1056 ; 4-byte Folded Spill
	scratch_store_dword off, v189, off offset:1052 ; 4-byte Folded Spill
	;; [unrolled: 1-line block ×12, first 2 shown]
	v_lshrrev_b32_e32 v47, 24, v111
	scratch_store_dword off, v50, off offset:936 ; 4-byte Folded Spill
	scratch_store_dword off, v45, off offset:928 ; 4-byte Folded Spill
	;; [unrolled: 1-line block ×27, first 2 shown]
	v_lshrrev_b32_e32 v29, 24, v179
	v_lshrrev_b32_e32 v55, 24, v147
	v_accvgpr_write_b32 a236, v47
	v_lshrrev_b32_e32 v47, 16, v111
	v_accvgpr_read_b32 v33, a229
	v_accvgpr_write_b32 a229, v29
	v_lshrrev_b32_e32 v29, 16, v179
	scratch_store_dword off, v58, off offset:580 ; 4-byte Folded Spill
	scratch_store_dword off, v221, off offset:564 ; 4-byte Folded Spill
	;; [unrolled: 1-line block ×29, first 2 shown]
	v_lshrrev_b32_e32 v52, 16, v147
	v_lshrrev_b32_e32 v31, 16, v146
	v_accvgpr_write_b32 a243, v47
	v_lshrrev_b32_e32 v47, 24, v110
	v_lshlrev_b16_e32 v49, 8, v49
	v_lshlrev_b16_e32 v55, 8, v55
	v_accvgpr_read_b32 v206, a235
	v_accvgpr_read_b32 v238, a232
	v_accvgpr_write_b32 a232, v29
	v_lshrrev_b32_e32 v29, 16, v178
	v_lshrrev_b32_e32 v56, 24, v146
	v_accvgpr_write_b32 a235, v31
	v_accvgpr_write_b32 a252, v47
	v_lshrrev_b32_e32 v47, 16, v110
	v_or_b32_sdwa v49, v147, v49 dst_sel:DWORD dst_unused:UNUSED_PAD src0_sel:BYTE_0 src1_sel:DWORD
	v_or_b32_sdwa v55, v52, v55 dst_sel:WORD_1 dst_unused:UNUSED_PAD src0_sel:BYTE_0 src1_sel:DWORD
	v_accvgpr_read_b32 v243, a230
	v_accvgpr_write_b32 a230, v29
	v_lshrrev_b32_e32 v29, 16, v180
	v_accvgpr_write_b32 a241, v47
	v_or_b32_sdwa v41, v49, v55 dst_sel:DWORD dst_unused:UNUSED_PAD src0_sel:WORD_0 src1_sel:DWORD
	v_lshlrev_b16_e32 v48, 8, v48
	v_lshlrev_b16_e32 v49, 8, v56
	v_accvgpr_read_b32 v47, a235
	v_lshrrev_b32_e32 v247, 8, v179
	v_lshrrev_b32_e32 v40, 8, v140
	v_accvgpr_write_b32 a231, v29
	v_or_b32_sdwa v48, v146, v48 dst_sel:DWORD dst_unused:UNUSED_PAD src0_sel:BYTE_0 src1_sel:DWORD
	v_or_b32_sdwa v49, v47, v49 dst_sel:WORD_1 dst_unused:UNUSED_PAD src0_sel:BYTE_0 src1_sel:DWORD
	v_accvgpr_read_b32 v29, a229
	v_lshrrev_b32_e32 v4, 8, v178
	v_accvgpr_read_b32 v245, a244
	v_accvgpr_write_b32 a244, v40
	v_or_b32_sdwa v40, v48, v49 dst_sel:DWORD dst_unused:UNUSED_PAD src0_sel:WORD_0 src1_sel:DWORD
	v_lshlrev_b16_e32 v48, 8, v247
	v_lshlrev_b16_e32 v49, 8, v29
	v_accvgpr_read_b32 v29, a232
	v_lshrrev_b32_e32 v226, 24, v178
	v_lshrrev_b32_e32 v31, 24, v149
	v_or_b32_sdwa v48, v179, v48 dst_sel:DWORD dst_unused:UNUSED_PAD src0_sel:BYTE_0 src1_sel:DWORD
	v_or_b32_sdwa v49, v29, v49 dst_sel:WORD_1 dst_unused:UNUSED_PAD src0_sel:BYTE_0 src1_sel:DWORD
	v_mov_b32_e32 v29, v4
	v_accvgpr_write_b32 a234, v31
	v_lshrrev_b32_e32 v31, 16, v149
	v_or_b32_sdwa v55, v48, v49 dst_sel:DWORD dst_unused:UNUSED_PAD src0_sel:WORD_0 src1_sel:DWORD
	v_lshlrev_b16_e32 v48, 8, v29
	v_lshlrev_b16_e32 v49, 8, v226
	v_accvgpr_read_b32 v29, a230
	v_accvgpr_read_b32 v60, a233
	v_accvgpr_write_b32 a233, v31
	v_or_b32_sdwa v48, v178, v48 dst_sel:DWORD dst_unused:UNUSED_PAD src0_sel:BYTE_0 src1_sel:DWORD
	v_or_b32_sdwa v49, v29, v49 dst_sel:WORD_1 dst_unused:UNUSED_PAD src0_sel:BYTE_0 src1_sel:DWORD
	v_accvgpr_read_b32 v47, a234
	v_lshrrev_b32_e32 v31, 16, v148
	v_or_b32_sdwa v54, v48, v49 dst_sel:DWORD dst_unused:UNUSED_PAD src0_sel:WORD_0 src1_sel:DWORD
	v_lshlrev_b16_e32 v36, 8, v36
	v_lshlrev_b16_e32 v48, 8, v47
	v_accvgpr_read_b32 v47, a233
	v_accvgpr_read_b32 v35, a228
	v_lshrrev_b32_e32 v244, 24, v148
	v_accvgpr_write_b32 a228, v31
	v_or_b32_sdwa v36, v149, v36 dst_sel:DWORD dst_unused:UNUSED_PAD src0_sel:BYTE_0 src1_sel:DWORD
	v_or_b32_sdwa v48, v47, v48 dst_sel:WORD_1 dst_unused:UNUSED_PAD src0_sel:BYTE_0 src1_sel:DWORD
	v_accvgpr_read_b32 v47, a228
	v_or_b32_sdwa v147, v36, v48 dst_sel:DWORD dst_unused:UNUSED_PAD src0_sel:WORD_0 src1_sel:DWORD
	v_lshlrev_b16_e32 v36, 8, v37
	v_lshlrev_b16_e32 v37, 8, v244
	v_lshrrev_b32_e32 v42, 24, v181
	v_or_b32_sdwa v36, v148, v36 dst_sel:DWORD dst_unused:UNUSED_PAD src0_sel:BYTE_0 src1_sel:DWORD
	v_or_b32_sdwa v37, v47, v37 dst_sel:WORD_1 dst_unused:UNUSED_PAD src0_sel:BYTE_0 src1_sel:DWORD
	v_lshrrev_b32_e32 v215, 16, v181
	v_or_b32_sdwa v146, v36, v37 dst_sel:DWORD dst_unused:UNUSED_PAD src0_sel:WORD_0 src1_sel:DWORD
	v_lshlrev_b16_e32 v36, 8, v210
	v_lshlrev_b16_e32 v37, 8, v42
	v_lshrrev_b32_e32 v240, 8, v180
	v_lshrrev_b32_e32 v220, 24, v180
	v_or_b32_sdwa v36, v181, v36 dst_sel:DWORD dst_unused:UNUSED_PAD src0_sel:BYTE_0 src1_sel:DWORD
	v_or_b32_sdwa v37, v215, v37 dst_sel:WORD_1 dst_unused:UNUSED_PAD src0_sel:BYTE_0 src1_sel:DWORD
	v_accvgpr_read_b32 v29, a231
	v_or_b32_sdwa v181, v36, v37 dst_sel:DWORD dst_unused:UNUSED_PAD src0_sel:WORD_0 src1_sel:DWORD
	v_lshlrev_b16_e32 v36, 8, v240
	v_lshlrev_b16_e32 v37, 8, v220
	v_mov_b32_e32 v252, v1
	v_or_b32_sdwa v36, v180, v36 dst_sel:DWORD dst_unused:UNUSED_PAD src0_sel:BYTE_0 src1_sel:DWORD
	v_or_b32_sdwa v37, v29, v37 dst_sel:WORD_1 dst_unused:UNUSED_PAD src0_sel:BYTE_0 src1_sel:DWORD
	v_accvgpr_read_b32 v1, a247
	v_or_b32_sdwa v180, v36, v37 dst_sel:DWORD dst_unused:UNUSED_PAD src0_sel:WORD_0 src1_sel:DWORD
	v_lshlrev_b16_e32 v36, 8, v252
	v_lshlrev_b16_e32 v37, 8, v1
	v_accvgpr_read_b32 v1, a251
	v_or_b32_sdwa v36, v175, v36 dst_sel:DWORD dst_unused:UNUSED_PAD src0_sel:BYTE_0 src1_sel:DWORD
	v_or_b32_sdwa v37, v1, v37 dst_sel:WORD_1 dst_unused:UNUSED_PAD src0_sel:BYTE_0 src1_sel:DWORD
	v_lshlrev_b16_e32 v17, 8, v17
	v_lshlrev_b16_e32 v1, 8, v206
	scratch_store_dword off, v233, off offset:448 ; 4-byte Folded Spill
	scratch_store_dword off, v26, off offset:384 ; 4-byte Folded Spill
	;; [unrolled: 1-line block ×6, first 2 shown]
	v_or_b32_sdwa v179, v36, v37 dst_sel:DWORD dst_unused:UNUSED_PAD src0_sel:WORD_0 src1_sel:DWORD
	v_lshlrev_b16_e32 v36, 8, v205
	v_or_b32_sdwa v17, v170, v17 dst_sel:DWORD dst_unused:UNUSED_PAD src0_sel:BYTE_0 src1_sel:DWORD
	v_or_b32_sdwa v1, v238, v1 dst_sel:WORD_1 dst_unused:UNUSED_PAD src0_sel:BYTE_0 src1_sel:DWORD
	v_lshrrev_b32_e32 v38, 24, v174
	v_lshrrev_b32_e32 v212, 16, v174
	v_or_b32_sdwa v36, v174, v36 dst_sel:DWORD dst_unused:UNUSED_PAD src0_sel:BYTE_0 src1_sel:DWORD
	v_or_b32_sdwa v174, v17, v1 dst_sel:DWORD dst_unused:UNUSED_PAD src0_sel:WORD_0 src1_sel:DWORD
	v_lshlrev_b16_e32 v1, 8, v16
	scratch_load_dword v16, off, off offset:988 ; 4-byte Folded Reload
	scratch_load_dword v17, off, off offset:968 ; 4-byte Folded Reload
	v_or_b32_sdwa v1, v173, v1 dst_sel:DWORD dst_unused:UNUSED_PAD src0_sel:BYTE_0 src1_sel:DWORD
	v_lshlrev_b16_e32 v19, 8, v19
	v_or_b32_sdwa v19, v171, v19 dst_sel:DWORD dst_unused:UNUSED_PAD src0_sel:BYTE_0 src1_sel:DWORD
	v_lshlrev_b16_e32 v37, 8, v38
	v_or_b32_sdwa v37, v212, v37 dst_sel:WORD_1 dst_unused:UNUSED_PAD src0_sel:BYTE_0 src1_sel:DWORD
	v_lshlrev_b16_e32 v22, 8, v22
	v_or_b32_sdwa v178, v36, v37 dst_sel:DWORD dst_unused:UNUSED_PAD src0_sel:WORD_0 src1_sel:DWORD
	v_lshlrev_b16_e32 v36, 8, v35
	v_or_b32_sdwa v22, v177, v22 dst_sel:DWORD dst_unused:UNUSED_PAD src0_sel:BYTE_0 src1_sel:DWORD
	v_or_b32_sdwa v36, v33, v36 dst_sel:WORD_1 dst_unused:UNUSED_PAD src0_sel:BYTE_0 src1_sel:DWORD
	v_lshlrev_b16_e32 v20, 8, v20
	v_or_b32_sdwa v177, v22, v36 dst_sel:DWORD dst_unused:UNUSED_PAD src0_sel:WORD_0 src1_sel:DWORD
	v_lshlrev_b16_e32 v22, 8, v243
	v_accvgpr_read_b32 v0, a242
	v_or_b32_sdwa v20, v176, v20 dst_sel:DWORD dst_unused:UNUSED_PAD src0_sel:BYTE_0 src1_sel:DWORD
	v_or_b32_sdwa v22, v60, v22 dst_sel:WORD_1 dst_unused:UNUSED_PAD src0_sel:BYTE_0 src1_sel:DWORD
	scratch_load_dword v4, off, off offset:840 ; 4-byte Folded Reload
	v_or_b32_sdwa v176, v20, v22 dst_sel:DWORD dst_unused:UNUSED_PAD src0_sel:WORD_0 src1_sel:DWORD
	v_lshlrev_b16_e32 v20, 8, v0
	scratch_load_dword v0, off, off offset:1076 ; 4-byte Folded Reload
	v_lshrrev_b32_e32 v241, 8, v139
	v_lshrrev_b32_e32 v59, 24, v139
	;; [unrolled: 1-line block ×7, first 2 shown]
	v_accvgpr_read_b32 v231, a246
	v_accvgpr_write_b32 a246, v189
	v_lshrrev_b32_e32 v26, 8, v141
	v_lshrrev_b32_e32 v190, 16, v141
	;; [unrolled: 1-line block ×4, first 2 shown]
	v_accvgpr_write_b32 a225, v219
	v_accvgpr_write_b32 a245, v188
	v_or_b32_sdwa v20, v245, v20 dst_sel:WORD_1 dst_unused:UNUSED_PAD src0_sel:BYTE_0 src1_sel:DWORD
	v_lshrrev_b32_e32 v25, 8, v137
	v_or_b32_sdwa v175, v19, v20 dst_sel:DWORD dst_unused:UNUSED_PAD src0_sel:WORD_0 src1_sel:DWORD
	v_accvgpr_write_b32 a254, v25
	v_mfma_f32_16x16x32_fp8_fp8 a[152:155], v[40:41], v[178:179], a[152:155]
	v_lshrrev_b32_e32 v249, 8, v135
	v_lshrrev_b32_e32 v51, 24, v135
	v_lshrrev_b32_e32 v250, 8, v128
	v_mfma_f32_16x16x32_fp8_fp8 a[148:151], v[40:41], v[174:175], a[148:151]
	v_lshrrev_b32_e32 v223, 16, v135
	v_lshrrev_b32_e32 v27, 8, v134
	;; [unrolled: 1-line block ×3, first 2 shown]
	v_mfma_f32_16x16x32_fp8_fp8 a[152:155], v[146:147], v[176:177], a[152:155]
	v_accvgpr_write_b32 a226, v250
	v_lshrrev_b32_e32 v30, 24, v137
	v_lshrrev_b32_e32 v184, 16, v134
	v_accvgpr_write_b32 a224, v30
	v_accvgpr_read_b32 v52, a224
	v_lshrrev_b32_e32 v46, 16, v137
	v_lshrrev_b32_e32 v209, 8, v136
	v_accvgpr_read_b32 v253, a155
	v_accvgpr_read_b32 v252, a154
	;; [unrolled: 1-line block ×4, first 2 shown]
	v_lshrrev_b32_e32 v39, 24, v136
	v_lshrrev_b32_e32 v45, 16, v136
	v_mfma_f32_16x16x32_fp8_fp8 a[156:159], v[40:41], v[54:55], a[156:159]
	v_lshrrev_b32_e32 v28, 8, v127
	v_lshrrev_b32_e32 v58, 24, v127
	;; [unrolled: 1-line block ×3, first 2 shown]
	v_mfma_f32_16x16x32_fp8_fp8 a[156:159], v[146:147], v[180:181], a[156:159]
	v_lshrrev_b32_e32 v221, 8, v119
	v_lshrrev_b32_e32 v218, 8, v118
	;; [unrolled: 1-line block ×3, first 2 shown]
	v_accvgpr_write_b32 a249, v30
	v_lshrrev_b32_e32 v30, 16, v126
	v_lshrrev_b32_e32 v235, 8, v126
	;; [unrolled: 1-line block ×3, first 2 shown]
	v_accvgpr_write_b32 a227, v30
	v_accvgpr_write_b32 a255, v221
	;; [unrolled: 1-line block ×3, first 2 shown]
	v_accvgpr_read_b32 v221, a159
	v_accvgpr_read_b32 v220, a158
	s_waitcnt vmcnt(3)
	v_lshlrev_b16_e32 v16, 8, v16
	s_waitcnt vmcnt(2)
	v_or_b32_sdwa v16, v17, v16 dst_sel:WORD_1 dst_unused:UNUSED_PAD src0_sel:BYTE_0 src1_sel:DWORD
	v_accvgpr_read_b32 v219, a157
	v_or_b32_sdwa v173, v1, v16 dst_sel:DWORD dst_unused:UNUSED_PAD src0_sel:WORD_0 src1_sel:DWORD
	v_lshlrev_b16_e32 v1, 8, v13
	scratch_load_dword v13, off, off offset:980 ; 4-byte Folded Reload
	scratch_load_dword v16, off, off offset:1028 ; 4-byte Folded Reload
	v_or_b32_sdwa v1, v172, v1 dst_sel:DWORD dst_unused:UNUSED_PAD src0_sel:BYTE_0 src1_sel:DWORD
	v_accvgpr_read_b32 v218, a156
	v_lshrrev_b32_e32 v236, 8, v129
	v_accvgpr_read_b32 v56, a249
	v_lshrrev_b32_e32 v50, 16, v129
	v_lshrrev_b32_e32 v182, 24, v128
	v_accvgpr_read_b32 v47, a226
	v_lshrrev_b32_e32 v185, 16, v128
	v_lshrrev_b32_e32 v30, 24, v119
	v_accvgpr_write_b32 a239, v30
	v_lshrrev_b32_e32 v30, 24, v118
	v_lshrrev_b32_e32 v234, 16, v119
	v_accvgpr_write_b32 a240, v30
	v_lshrrev_b32_e32 v30, 24, v121
	v_accvgpr_write_b32 a237, v30
	v_lshrrev_b32_e32 v30, 16, v121
	v_accvgpr_read_b32 v33, a253
	v_lshrrev_b32_e32 v239, 16, v118
	v_accvgpr_write_b32 a248, v30
	v_lshrrev_b32_e32 v30, 16, v113
	v_lshrrev_b32_e32 v255, 8, v121
	v_accvgpr_write_b32 a250, v30
	v_lshrrev_b32_e32 v30, 24, v120
	v_accvgpr_read_b32 v248, a238
	v_accvgpr_write_b32 a238, v30
	v_lshrrev_b32_e32 v233, 8, v120
	v_lshrrev_b32_e32 v192, 16, v120
	;; [unrolled: 1-line block ×6, first 2 shown]
	s_lshl_b64 s[0:1], s[10:11], 1
	s_add_u32 s28, s8, s0
	s_mul_i32 s15, s15, s25
	s_mul_hi_u32 s0, s14, s25
	s_addc_u32 s29, s9, s1
	s_add_i32 s0, s0, s15
	s_add_i32 s0, s21, s0
	s_lshl_b32 s30, s0, 1
	s_mov_b32 s31, 0x20000
	s_lshl_b32 s18, s25, 5
	s_waitcnt vmcnt(1)
	v_lshlrev_b16_e32 v13, 8, v13
	s_waitcnt vmcnt(0)
	v_or_b32_sdwa v13, v16, v13 dst_sel:WORD_1 dst_unused:UNUSED_PAD src0_sel:BYTE_0 src1_sel:DWORD
	s_nop 0
	v_or_b32_sdwa v172, v1, v13 dst_sel:DWORD dst_unused:UNUSED_PAD src0_sel:WORD_0 src1_sel:DWORD
	v_lshlrev_b16_e32 v1, 8, v12
	scratch_load_dword v12, off, off offset:940 ; 4-byte Folded Reload
	scratch_load_dword v13, off, off offset:960 ; 4-byte Folded Reload
	v_or_b32_sdwa v1, v167, v1 dst_sel:DWORD dst_unused:UNUSED_PAD src0_sel:BYTE_0 src1_sel:DWORD
	v_mfma_f32_16x16x32_fp8_fp8 a[148:151], v[146:147], v[172:173], a[148:151]
	s_waitcnt vmcnt(1)
	v_lshlrev_b16_e32 v12, 8, v12
	s_waitcnt vmcnt(0)
	v_or_b32_sdwa v12, v13, v12 dst_sel:WORD_1 dst_unused:UNUSED_PAD src0_sel:BYTE_0 src1_sel:DWORD
	s_nop 2
	v_accvgpr_read_b32 v247, a151
	v_or_b32_sdwa v171, v1, v12 dst_sel:DWORD dst_unused:UNUSED_PAD src0_sel:WORD_0 src1_sel:DWORD
	v_lshlrev_b16_e32 v1, 8, v10
	scratch_load_dword v10, off, off offset:964 ; 4-byte Folded Reload
	scratch_load_dword v12, off, off offset:956 ; 4-byte Folded Reload
	v_or_b32_sdwa v1, v166, v1 dst_sel:DWORD dst_unused:UNUSED_PAD src0_sel:BYTE_0 src1_sel:DWORD
	v_accvgpr_read_b32 v246, a150
	v_accvgpr_read_b32 v245, a149
	;; [unrolled: 1-line block ×3, first 2 shown]
	s_waitcnt vmcnt(1)
	v_lshlrev_b16_e32 v10, 8, v10
	s_waitcnt vmcnt(0)
	v_or_b32_sdwa v10, v12, v10 dst_sel:WORD_1 dst_unused:UNUSED_PAD src0_sel:BYTE_0 src1_sel:DWORD
	scratch_load_dword v12, off, off offset:1052 ; 4-byte Folded Reload
	v_or_b32_sdwa v170, v1, v10 dst_sel:DWORD dst_unused:UNUSED_PAD src0_sel:WORD_0 src1_sel:DWORD
	v_lshlrev_b16_e32 v1, 8, v23
	v_lshlrev_b16_e32 v10, 8, v225
	v_or_b32_sdwa v1, v169, v1 dst_sel:DWORD dst_unused:UNUSED_PAD src0_sel:BYTE_0 src1_sel:DWORD
	v_mfma_f32_16x16x32_fp8_fp8 a[144:147], v[40:41], v[170:171], a[144:147]
	s_waitcnt vmcnt(0)
	v_or_b32_sdwa v10, v12, v10 dst_sel:WORD_1 dst_unused:UNUSED_PAD src0_sel:BYTE_0 src1_sel:DWORD
	s_nop 0
	v_or_b32_sdwa v169, v1, v10 dst_sel:DWORD dst_unused:UNUSED_PAD src0_sel:WORD_0 src1_sel:DWORD
	scratch_load_dword v10, off, off offset:1044 ; 4-byte Folded Reload
	v_lshlrev_b16_e32 v1, 8, v8
	v_lshlrev_b16_e32 v8, 8, v34
	v_or_b32_sdwa v1, v168, v1 dst_sel:DWORD dst_unused:UNUSED_PAD src0_sel:BYTE_0 src1_sel:DWORD
	s_waitcnt vmcnt(0)
	v_or_b32_sdwa v8, v10, v8 dst_sel:WORD_1 dst_unused:UNUSED_PAD src0_sel:BYTE_0 src1_sel:DWORD
	scratch_load_dword v10, off, off offset:1056 ; 4-byte Folded Reload
	v_or_b32_sdwa v168, v1, v8 dst_sel:DWORD dst_unused:UNUSED_PAD src0_sel:WORD_0 src1_sel:DWORD
	v_lshlrev_b16_e32 v1, 8, v21
	v_lshlrev_b16_e32 v8, 8, v61
	v_or_b32_sdwa v1, v163, v1 dst_sel:DWORD dst_unused:UNUSED_PAD src0_sel:BYTE_0 src1_sel:DWORD
	v_mfma_f32_16x16x32_fp8_fp8 a[144:147], v[146:147], v[168:169], a[144:147]
	s_waitcnt vmcnt(0)
	v_or_b32_sdwa v8, v10, v8 dst_sel:WORD_1 dst_unused:UNUSED_PAD src0_sel:BYTE_0 src1_sel:DWORD
	s_nop 0
	v_or_b32_sdwa v167, v1, v8 dst_sel:DWORD dst_unused:UNUSED_PAD src0_sel:WORD_0 src1_sel:DWORD
	scratch_load_dword v8, off, off offset:1048 ; 4-byte Folded Reload
	v_lshlrev_b16_e32 v1, 8, v18
	v_or_b32_sdwa v1, v162, v1 dst_sel:DWORD dst_unused:UNUSED_PAD src0_sel:BYTE_0 src1_sel:DWORD
	v_accvgpr_read_b32 v22, a144
	v_accvgpr_read_b32 v23, a145
	;; [unrolled: 1-line block ×4, first 2 shown]
	s_waitcnt vmcnt(0)
	v_lshlrev_b16_e32 v8, 8, v8
	v_or_b32_sdwa v8, v32, v8 dst_sel:WORD_1 dst_unused:UNUSED_PAD src0_sel:BYTE_0 src1_sel:DWORD
	s_nop 0
	v_or_b32_sdwa v166, v1, v8 dst_sel:DWORD dst_unused:UNUSED_PAD src0_sel:WORD_0 src1_sel:DWORD
	v_lshlrev_b16_e32 v8, 8, v0
	scratch_load_dword v0, off, off offset:1072 ; 4-byte Folded Reload
	v_lshlrev_b16_e32 v1, 8, v15
	v_or_b32_sdwa v1, v165, v1 dst_sel:DWORD dst_unused:UNUSED_PAD src0_sel:BYTE_0 src1_sel:DWORD
	v_mfma_f32_16x16x32_fp8_fp8 a[140:143], v[40:41], v[166:167], a[140:143]
	s_waitcnt vmcnt(0)
	v_or_b32_sdwa v8, v0, v8 dst_sel:WORD_1 dst_unused:UNUSED_PAD src0_sel:BYTE_0 src1_sel:DWORD
	scratch_load_dword v0, off, off offset:1064 ; 4-byte Folded Reload
	v_or_b32_sdwa v163, v1, v8 dst_sel:DWORD dst_unused:UNUSED_PAD src0_sel:WORD_0 src1_sel:DWORD
	v_lshlrev_b16_e32 v1, 8, v14
	v_or_b32_sdwa v1, v164, v1 dst_sel:DWORD dst_unused:UNUSED_PAD src0_sel:BYTE_0 src1_sel:DWORD
	s_waitcnt vmcnt(0)
	v_lshlrev_b16_e32 v8, 8, v0
	scratch_load_dword v0, off, off offset:1068 ; 4-byte Folded Reload
	s_waitcnt vmcnt(0)
	v_or_b32_sdwa v8, v0, v8 dst_sel:WORD_1 dst_unused:UNUSED_PAD src0_sel:BYTE_0 src1_sel:DWORD
	scratch_load_dword v0, off, off offset:1060 ; 4-byte Folded Reload
	v_or_b32_sdwa v162, v1, v8 dst_sel:DWORD dst_unused:UNUSED_PAD src0_sel:WORD_0 src1_sel:DWORD
	scratch_load_dword v8, off, off offset:1024 ; 4-byte Folded Reload
	v_lshlrev_b16_e32 v1, 8, v11
	v_or_b32_sdwa v1, v159, v1 dst_sel:DWORD dst_unused:UNUSED_PAD src0_sel:BYTE_0 src1_sel:DWORD
	v_mfma_f32_16x16x32_fp8_fp8 a[140:143], v[146:147], v[162:163], a[140:143]
	s_waitcnt vmcnt(1)
	v_lshlrev_b16_e32 v0, 8, v0
	s_nop 4
	v_accvgpr_read_b32 v12, a140
	s_waitcnt vmcnt(0)
	v_or_b32_sdwa v0, v8, v0 dst_sel:WORD_1 dst_unused:UNUSED_PAD src0_sel:BYTE_0 src1_sel:DWORD
	scratch_load_dword v8, off, off offset:928 ; 4-byte Folded Reload
	v_or_b32_sdwa v159, v1, v0 dst_sel:DWORD dst_unused:UNUSED_PAD src0_sel:WORD_0 src1_sel:DWORD
	scratch_load_dword v1, off, off offset:936 ; 4-byte Folded Reload
	v_lshlrev_b16_e32 v0, 8, v9
	v_or_b32_sdwa v0, v158, v0 dst_sel:DWORD dst_unused:UNUSED_PAD src0_sel:BYTE_0 src1_sel:DWORD
	v_accvgpr_read_b32 v13, a141
	v_accvgpr_read_b32 v14, a142
	;; [unrolled: 1-line block ×3, first 2 shown]
	s_waitcnt vmcnt(0)
	v_lshlrev_b16_e32 v1, 8, v1
	v_or_b32_sdwa v1, v8, v1 dst_sel:WORD_1 dst_unused:UNUSED_PAD src0_sel:BYTE_0 src1_sel:DWORD
	s_nop 0
	v_or_b32_sdwa v158, v0, v1 dst_sel:DWORD dst_unused:UNUSED_PAD src0_sel:WORD_0 src1_sel:DWORD
	scratch_load_dword v1, off, off offset:932 ; 4-byte Folded Reload
	v_lshlrev_b16_e32 v0, 8, v7
	scratch_load_dword v7, off, off offset:924 ; 4-byte Folded Reload
	v_or_b32_sdwa v0, v161, v0 dst_sel:DWORD dst_unused:UNUSED_PAD src0_sel:BYTE_0 src1_sel:DWORD
	v_mfma_f32_16x16x32_fp8_fp8 a[136:139], v[40:41], v[158:159], a[136:139]
	s_waitcnt vmcnt(1)
	v_lshlrev_b16_e32 v1, 8, v1
	s_waitcnt vmcnt(0)
	v_or_b32_sdwa v1, v7, v1 dst_sel:WORD_1 dst_unused:UNUSED_PAD src0_sel:BYTE_0 src1_sel:DWORD
	s_nop 0
	v_or_b32_sdwa v161, v0, v1 dst_sel:DWORD dst_unused:UNUSED_PAD src0_sel:WORD_0 src1_sel:DWORD
	scratch_load_dword v1, off, off offset:920 ; 4-byte Folded Reload
	v_lshlrev_b16_e32 v0, 8, v6
	v_or_b32_sdwa v0, v160, v0 dst_sel:DWORD dst_unused:UNUSED_PAD src0_sel:BYTE_0 src1_sel:DWORD
	scratch_load_dword v6, off, off offset:152 ; 4-byte Folded Reload
	scratch_load_dword v7, off, off offset:160 ; 4-byte Folded Reload
	s_waitcnt vmcnt(2)
	v_lshlrev_b16_e32 v1, 8, v1
	v_or_b32_sdwa v1, v44, v1 dst_sel:WORD_1 dst_unused:UNUSED_PAD src0_sel:BYTE_0 src1_sel:DWORD
	s_nop 0
	v_or_b32_sdwa v160, v0, v1 dst_sel:DWORD dst_unused:UNUSED_PAD src0_sel:WORD_0 src1_sel:DWORD
	scratch_load_dword v1, off, off offset:852 ; 4-byte Folded Reload
	v_lshlrev_b16_e32 v0, 8, v5
	scratch_load_dword v5, off, off offset:848 ; 4-byte Folded Reload
	v_or_b32_sdwa v0, v155, v0 dst_sel:DWORD dst_unused:UNUSED_PAD src0_sel:BYTE_0 src1_sel:DWORD
	v_mfma_f32_16x16x32_fp8_fp8 a[136:139], v[146:147], v[160:161], a[136:139]
	s_waitcnt vmcnt(1)
	v_lshlrev_b16_e32 v1, 8, v1
	s_nop 4
	v_accvgpr_read_b32 v16, a136
	s_waitcnt vmcnt(0)
	v_or_b32_sdwa v1, v5, v1 dst_sel:WORD_1 dst_unused:UNUSED_PAD src0_sel:BYTE_0 src1_sel:DWORD
	v_accvgpr_read_b32 v5, a245
	v_or_b32_sdwa v155, v0, v1 dst_sel:DWORD dst_unused:UNUSED_PAD src0_sel:WORD_0 src1_sel:DWORD
	scratch_load_dword v1, off, off offset:844 ; 4-byte Folded Reload
	v_lshrrev_b32_e32 v0, 8, v154
	v_lshlrev_b16_e32 v0, 8, v0
	v_or_b32_sdwa v0, v154, v0 dst_sel:DWORD dst_unused:UNUSED_PAD src0_sel:BYTE_0 src1_sel:DWORD
	v_accvgpr_read_b32 v17, a137
	v_accvgpr_read_b32 v18, a138
	;; [unrolled: 1-line block ×3, first 2 shown]
	s_waitcnt vmcnt(0)
	v_lshlrev_b16_e32 v1, 8, v1
	v_or_b32_sdwa v1, v4, v1 dst_sel:WORD_1 dst_unused:UNUSED_PAD src0_sel:BYTE_0 src1_sel:DWORD
	scratch_load_dword v4, off, off offset:824 ; 4-byte Folded Reload
	v_or_b32_sdwa v154, v0, v1 dst_sel:DWORD dst_unused:UNUSED_PAD src0_sel:WORD_0 src1_sel:DWORD
	scratch_load_dword v1, off, off offset:828 ; 4-byte Folded Reload
	v_lshrrev_b32_e32 v0, 8, v157
	v_lshlrev_b16_e32 v0, 8, v0
	v_or_b32_sdwa v0, v157, v0 dst_sel:DWORD dst_unused:UNUSED_PAD src0_sel:BYTE_0 src1_sel:DWORD
	v_mfma_f32_16x16x32_fp8_fp8 a[132:135], v[40:41], v[154:155], a[132:135]
	s_waitcnt vmcnt(0)
	v_lshlrev_b16_e32 v1, 8, v1
	v_or_b32_sdwa v1, v4, v1 dst_sel:WORD_1 dst_unused:UNUSED_PAD src0_sel:BYTE_0 src1_sel:DWORD
	v_accvgpr_read_b32 v4, a225
	v_or_b32_sdwa v149, v0, v1 dst_sel:DWORD dst_unused:UNUSED_PAD src0_sel:WORD_0 src1_sel:DWORD
	scratch_load_dword v1, off, off offset:820 ; 4-byte Folded Reload
	v_lshlrev_b16_e32 v0, 8, v3
	scratch_load_dword v3, off, off offset:816 ; 4-byte Folded Reload
	v_or_b32_sdwa v0, v156, v0 dst_sel:DWORD dst_unused:UNUSED_PAD src0_sel:BYTE_0 src1_sel:DWORD
	v_lshlrev_b16_e32 v4, 8, v4
	v_or_b32_sdwa v4, v5, v4 dst_sel:WORD_1 dst_unused:UNUSED_PAD src0_sel:BYTE_0 src1_sel:DWORD
	scratch_load_dword v5, off, off offset:168 ; 4-byte Folded Reload
	s_waitcnt vmcnt(2)
	v_lshlrev_b16_e32 v1, 8, v1
	s_waitcnt vmcnt(1)
	v_or_b32_sdwa v1, v3, v1 dst_sel:WORD_1 dst_unused:UNUSED_PAD src0_sel:BYTE_0 src1_sel:DWORD
	s_nop 0
	v_or_b32_sdwa v148, v0, v1 dst_sel:DWORD dst_unused:UNUSED_PAD src0_sel:WORD_0 src1_sel:DWORD
	scratch_load_dword v1, off, off offset:740 ; 4-byte Folded Reload
	v_lshlrev_b16_e32 v0, 8, v2
	scratch_load_dword v2, off, off offset:736 ; 4-byte Folded Reload
	v_or_b32_sdwa v0, v151, v0 dst_sel:DWORD dst_unused:UNUSED_PAD src0_sel:BYTE_0 src1_sel:DWORD
	v_accvgpr_read_b32 v3, a246
	v_lshlrev_b16_e32 v3, 8, v3
	v_or_b32_sdwa v3, v190, v3 dst_sel:WORD_1 dst_unused:UNUSED_PAD src0_sel:BYTE_0 src1_sel:DWORD
	v_mfma_f32_16x16x32_fp8_fp8 a[132:135], v[146:147], v[148:149], a[132:135]
	s_waitcnt vmcnt(1)
	v_lshlrev_b16_e32 v1, 8, v1
	s_nop 4
	v_accvgpr_read_b32 v189, a135
	s_waitcnt vmcnt(0)
	v_or_b32_sdwa v1, v2, v1 dst_sel:WORD_1 dst_unused:UNUSED_PAD src0_sel:BYTE_0 src1_sel:DWORD
	scratch_load_dword v2, off, off offset:1036 ; 4-byte Folded Reload
	v_or_b32_sdwa v151, v0, v1 dst_sel:DWORD dst_unused:UNUSED_PAD src0_sel:WORD_0 src1_sel:DWORD
	scratch_load_dword v1, off, off offset:1040 ; 4-byte Folded Reload
	v_lshlrev_b16_e32 v0, 8, v183
	v_or_b32_sdwa v0, v150, v0 dst_sel:DWORD dst_unused:UNUSED_PAD src0_sel:BYTE_0 src1_sel:DWORD
	v_accvgpr_read_b32 v188, a134
	v_accvgpr_read_b32 v187, a133
	;; [unrolled: 1-line block ×3, first 2 shown]
	s_waitcnt vmcnt(0)
	v_lshlrev_b16_e32 v1, 8, v1
	v_or_b32_sdwa v1, v2, v1 dst_sel:WORD_1 dst_unused:UNUSED_PAD src0_sel:BYTE_0 src1_sel:DWORD
	scratch_load_dword v2, off, off offset:1016 ; 4-byte Folded Reload
	v_or_b32_sdwa v150, v0, v1 dst_sel:DWORD dst_unused:UNUSED_PAD src0_sel:WORD_0 src1_sel:DWORD
	scratch_load_dword v1, off, off offset:1032 ; 4-byte Folded Reload
	v_lshrrev_b32_e32 v0, 8, v153
	v_lshlrev_b16_e32 v0, 8, v0
	v_or_b32_sdwa v0, v153, v0 dst_sel:DWORD dst_unused:UNUSED_PAD src0_sel:BYTE_0 src1_sel:DWORD
	v_mfma_f32_16x16x32_fp8_fp8 a[128:131], v[40:41], v[150:151], a[128:131]
	s_waitcnt vmcnt(0)
	v_lshlrev_b16_e32 v1, 8, v1
	v_or_b32_sdwa v1, v2, v1 dst_sel:WORD_1 dst_unused:UNUSED_PAD src0_sel:BYTE_0 src1_sel:DWORD
	scratch_load_dword v2, off, off offset:1008 ; 4-byte Folded Reload
	v_or_b32_sdwa v153, v0, v1 dst_sel:DWORD dst_unused:UNUSED_PAD src0_sel:WORD_0 src1_sel:DWORD
	scratch_load_dword v1, off, off offset:1012 ; 4-byte Folded Reload
	v_lshrrev_b32_e32 v0, 8, v152
	v_lshlrev_b16_e32 v0, 8, v0
	v_or_b32_sdwa v0, v152, v0 dst_sel:DWORD dst_unused:UNUSED_PAD src0_sel:BYTE_0 src1_sel:DWORD
	s_waitcnt vmcnt(0)
	v_lshlrev_b16_e32 v1, 8, v1
	v_or_b32_sdwa v1, v2, v1 dst_sel:WORD_1 dst_unused:UNUSED_PAD src0_sel:BYTE_0 src1_sel:DWORD
	v_lshlrev_b16_e32 v2, 8, v57
	v_or_b32_sdwa v152, v0, v1 dst_sel:DWORD dst_unused:UNUSED_PAD src0_sel:WORD_0 src1_sel:DWORD
	v_lshlrev_b16_e32 v0, 8, v241
	v_lshlrev_b16_e32 v1, 8, v59
	v_or_b32_sdwa v0, v139, v0 dst_sel:DWORD dst_unused:UNUSED_PAD src0_sel:BYTE_0 src1_sel:DWORD
	v_or_b32_sdwa v1, v31, v1 dst_sel:WORD_1 dst_unused:UNUSED_PAD src0_sel:BYTE_0 src1_sel:DWORD
	v_or_b32_sdwa v2, v222, v2 dst_sel:WORD_1 dst_unused:UNUSED_PAD src0_sel:BYTE_0 src1_sel:DWORD
	v_or_b32_sdwa v1, v0, v1 dst_sel:DWORD dst_unused:UNUSED_PAD src0_sel:WORD_0 src1_sel:DWORD
	v_lshlrev_b16_e32 v0, 8, v237
	v_or_b32_sdwa v0, v138, v0 dst_sel:DWORD dst_unused:UNUSED_PAD src0_sel:BYTE_0 src1_sel:DWORD
	v_or_b32_sdwa v0, v0, v2 dst_sel:DWORD dst_unused:UNUSED_PAD src0_sel:WORD_0 src1_sel:DWORD
	v_lshlrev_b16_e32 v2, 8, v26
	v_or_b32_sdwa v2, v141, v2 dst_sel:DWORD dst_unused:UNUSED_PAD src0_sel:BYTE_0 src1_sel:DWORD
	v_or_b32_sdwa v3, v2, v3 dst_sel:DWORD dst_unused:UNUSED_PAD src0_sel:WORD_0 src1_sel:DWORD
	v_accvgpr_read_b32 v2, a244
	v_lshlrev_b16_e32 v2, 8, v2
	v_or_b32_sdwa v2, v140, v2 dst_sel:DWORD dst_unused:UNUSED_PAD src0_sel:BYTE_0 src1_sel:DWORD
	v_or_b32_sdwa v2, v2, v4 dst_sel:DWORD dst_unused:UNUSED_PAD src0_sel:WORD_0 src1_sel:DWORD
	v_mfma_f32_16x16x32_fp8_fp8 a[84:87], v[0:1], v[178:179], a[84:87]
	v_lshlrev_b16_e32 v4, 8, v39
	v_or_b32_sdwa v4, v45, v4 dst_sel:WORD_1 dst_unused:UNUSED_PAD src0_sel:BYTE_0 src1_sel:DWORD
	v_mfma_f32_16x16x32_fp8_fp8 a[244:247], v[2:3], v[176:177], a[84:87]
	v_mfma_f32_16x16x32_fp8_fp8 a[84:87], v[0:1], v[174:175], a[116:119]
	;; [unrolled: 1-line block ×12, first 2 shown]
	v_lshlrev_b16_e32 v0, 8, v249
	v_lshlrev_b16_e32 v1, 8, v51
	v_or_b32_sdwa v0, v135, v0 dst_sel:DWORD dst_unused:UNUSED_PAD src0_sel:BYTE_0 src1_sel:DWORD
	v_or_b32_sdwa v1, v223, v1 dst_sel:WORD_1 dst_unused:UNUSED_PAD src0_sel:BYTE_0 src1_sel:DWORD
	v_mfma_f32_16x16x32_fp8_fp8 a[152:155], v[2:3], v[180:181], a[88:91]
	v_or_b32_sdwa v1, v0, v1 dst_sel:DWORD dst_unused:UNUSED_PAD src0_sel:WORD_0 src1_sel:DWORD
	v_lshlrev_b16_e32 v0, 8, v27
	v_or_b32_sdwa v0, v134, v0 dst_sel:DWORD dst_unused:UNUSED_PAD src0_sel:BYTE_0 src1_sel:DWORD
	v_mfma_f32_16x16x32_fp8_fp8 a[132:135], v[2:3], v[148:149], a[84:87]
	v_mfma_f32_16x16x32_fp8_fp8 a[80:83], v[2:3], v[152:153], a[80:83]
	v_lshlrev_b16_e32 v2, 8, v191
	v_or_b32_sdwa v2, v184, v2 dst_sel:WORD_1 dst_unused:UNUSED_PAD src0_sel:BYTE_0 src1_sel:DWORD
	v_lshlrev_b16_e32 v3, 8, v52
	v_or_b32_sdwa v0, v0, v2 dst_sel:DWORD dst_unused:UNUSED_PAD src0_sel:WORD_0 src1_sel:DWORD
	v_accvgpr_read_b32 v2, a254
	v_lshlrev_b16_e32 v2, 8, v2
	v_or_b32_sdwa v2, v137, v2 dst_sel:DWORD dst_unused:UNUSED_PAD src0_sel:BYTE_0 src1_sel:DWORD
	v_or_b32_sdwa v3, v46, v3 dst_sel:WORD_1 dst_unused:UNUSED_PAD src0_sel:BYTE_0 src1_sel:DWORD
	v_mfma_f32_16x16x32_fp8_fp8 a[44:47], v[0:1], v[158:159], a[44:47]
	v_or_b32_sdwa v3, v2, v3 dst_sel:DWORD dst_unused:UNUSED_PAD src0_sel:WORD_0 src1_sel:DWORD
	v_lshlrev_b16_e32 v2, 8, v209
	v_or_b32_sdwa v2, v136, v2 dst_sel:DWORD dst_unused:UNUSED_PAD src0_sel:BYTE_0 src1_sel:DWORD
	v_or_b32_sdwa v2, v2, v4 dst_sel:DWORD dst_unused:UNUSED_PAD src0_sel:WORD_0 src1_sel:DWORD
	v_mfma_f32_16x16x32_fp8_fp8 a[68:71], v[0:1], v[54:55], a[68:71]
	v_lshlrev_b16_e32 v4, 8, v182
	v_or_b32_sdwa v4, v185, v4 dst_sel:WORD_1 dst_unused:UNUSED_PAD src0_sel:BYTE_0 src1_sel:DWORD
	v_accvgpr_read_b32 v46, a255
	v_mfma_f32_16x16x32_fp8_fp8 a[64:67], v[0:1], v[178:179], a[64:67]
	v_mfma_f32_16x16x32_fp8_fp8 a[60:63], v[0:1], v[174:175], a[60:63]
	;; [unrolled: 1-line block ×7, first 2 shown]
	v_lshlrev_b16_e32 v0, 8, v28
	v_lshlrev_b16_e32 v1, 8, v58
	v_or_b32_sdwa v0, v127, v0 dst_sel:DWORD dst_unused:UNUSED_PAD src0_sel:BYTE_0 src1_sel:DWORD
	v_or_b32_sdwa v1, v224, v1 dst_sel:WORD_1 dst_unused:UNUSED_PAD src0_sel:BYTE_0 src1_sel:DWORD
	v_mfma_f32_16x16x32_fp8_fp8 a[156:159], v[146:147], v[152:153], a[128:131]
	v_or_b32_sdwa v1, v0, v1 dst_sel:DWORD dst_unused:UNUSED_PAD src0_sel:WORD_0 src1_sel:DWORD
	v_lshlrev_b16_e32 v0, 8, v235
	v_or_b32_sdwa v0, v126, v0 dst_sel:DWORD dst_unused:UNUSED_PAD src0_sel:BYTE_0 src1_sel:DWORD
	v_mfma_f32_16x16x32_fp8_fp8 a[116:119], v[2:3], v[180:181], a[68:71]
	v_mfma_f32_16x16x32_fp8_fp8 a[128:131], v[2:3], v[176:177], a[64:67]
	v_mfma_f32_16x16x32_fp8_fp8 a[112:115], v[2:3], v[172:173], a[60:63]
	v_mfma_f32_16x16x32_fp8_fp8 a[100:103], v[2:3], v[168:169], a[52:55]
	v_mfma_f32_16x16x32_fp8_fp8 a[96:99], v[2:3], v[162:163], a[48:51]
	v_mfma_f32_16x16x32_fp8_fp8 a[88:91], v[2:3], v[148:149], a[44:47]
	v_mfma_f32_16x16x32_fp8_fp8 a[68:71], v[2:3], v[152:153], a[40:43]
	v_lshlrev_b16_e32 v2, 8, v53
	v_accvgpr_read_b32 v3, a227
	v_or_b32_sdwa v2, v3, v2 dst_sel:WORD_1 dst_unused:UNUSED_PAD src0_sel:BYTE_0 src1_sel:DWORD
	v_lshlrev_b16_e32 v3, 8, v56
	v_or_b32_sdwa v0, v0, v2 dst_sel:DWORD dst_unused:UNUSED_PAD src0_sel:WORD_0 src1_sel:DWORD
	v_lshlrev_b16_e32 v2, 8, v236
	v_or_b32_sdwa v2, v129, v2 dst_sel:DWORD dst_unused:UNUSED_PAD src0_sel:BYTE_0 src1_sel:DWORD
	v_or_b32_sdwa v3, v50, v3 dst_sel:WORD_1 dst_unused:UNUSED_PAD src0_sel:BYTE_0 src1_sel:DWORD
	v_mfma_f32_16x16x32_fp8_fp8 a[28:31], v[0:1], v[54:55], a[28:31]
	v_or_b32_sdwa v3, v2, v3 dst_sel:DWORD dst_unused:UNUSED_PAD src0_sel:WORD_0 src1_sel:DWORD
	v_lshlrev_b16_e32 v2, 8, v47
	v_or_b32_sdwa v2, v128, v2 dst_sel:DWORD dst_unused:UNUSED_PAD src0_sel:BYTE_0 src1_sel:DWORD
	v_or_b32_sdwa v2, v2, v4 dst_sel:DWORD dst_unused:UNUSED_PAD src0_sel:WORD_0 src1_sel:DWORD
	v_accvgpr_read_b32 v4, a248
	s_nop 0
	v_mfma_f32_16x16x32_fp8_fp8 a[84:87], v[2:3], v[180:181], a[28:31]
	v_mfma_f32_16x16x32_fp8_fp8 a[28:31], v[0:1], v[178:179], a[32:35]
	;; [unrolled: 1-line block ×14, first 2 shown]
	v_accvgpr_read_b32 v1, a239
	v_lshlrev_b16_e32 v0, 8, v46
	v_lshlrev_b16_e32 v1, 8, v1
	v_mfma_f32_16x16x32_fp8_fp8 a[72:75], v[2:3], v[152:153], a[28:31]
	v_or_b32_sdwa v0, v119, v0 dst_sel:DWORD dst_unused:UNUSED_PAD src0_sel:BYTE_0 src1_sel:DWORD
	v_or_b32_sdwa v1, v234, v1 dst_sel:WORD_1 dst_unused:UNUSED_PAD src0_sel:BYTE_0 src1_sel:DWORD
	v_accvgpr_read_b32 v2, a240
	v_or_b32_sdwa v1, v0, v1 dst_sel:DWORD dst_unused:UNUSED_PAD src0_sel:WORD_0 src1_sel:DWORD
	v_lshlrev_b16_e32 v0, 8, v33
	v_lshlrev_b16_e32 v2, 8, v2
	v_or_b32_sdwa v0, v118, v0 dst_sel:DWORD dst_unused:UNUSED_PAD src0_sel:BYTE_0 src1_sel:DWORD
	v_or_b32_sdwa v2, v239, v2 dst_sel:WORD_1 dst_unused:UNUSED_PAD src0_sel:BYTE_0 src1_sel:DWORD
	v_accvgpr_read_b32 v3, a237
	v_or_b32_sdwa v0, v0, v2 dst_sel:DWORD dst_unused:UNUSED_PAD src0_sel:WORD_0 src1_sel:DWORD
	v_lshlrev_b16_e32 v2, 8, v255
	v_lshlrev_b16_e32 v3, 8, v3
	v_or_b32_sdwa v2, v121, v2 dst_sel:DWORD dst_unused:UNUSED_PAD src0_sel:BYTE_0 src1_sel:DWORD
	v_or_b32_sdwa v3, v4, v3 dst_sel:WORD_1 dst_unused:UNUSED_PAD src0_sel:BYTE_0 src1_sel:DWORD
	v_accvgpr_read_b32 v4, a238
	v_or_b32_sdwa v3, v2, v3 dst_sel:DWORD dst_unused:UNUSED_PAD src0_sel:WORD_0 src1_sel:DWORD
	v_lshlrev_b16_e32 v2, 8, v233
	v_lshlrev_b16_e32 v4, 8, v4
	v_or_b32_sdwa v2, v120, v2 dst_sel:DWORD dst_unused:UNUSED_PAD src0_sel:BYTE_0 src1_sel:DWORD
	v_or_b32_sdwa v4, v192, v4 dst_sel:WORD_1 dst_unused:UNUSED_PAD src0_sel:BYTE_0 src1_sel:DWORD
	v_mfma_f32_16x16x32_fp8_fp8 a[28:31], v[0:1], v[54:55], a[36:39]
	v_or_b32_sdwa v2, v2, v4 dst_sel:DWORD dst_unused:UNUSED_PAD src0_sel:WORD_0 src1_sel:DWORD
	v_accvgpr_read_b32 v4, a250
	s_nop 0
	v_mfma_f32_16x16x32_fp8_fp8 a[60:63], v[2:3], v[180:181], a[28:31]
	v_mfma_f32_16x16x32_fp8_fp8 a[28:31], v[0:1], v[178:179], a[168:171]
	;; [unrolled: 1-line block ×14, first 2 shown]
	v_lshrrev_b32_e32 v0, 8, v111
	v_accvgpr_read_b32 v1, a236
	v_lshlrev_b16_e32 v0, 8, v0
	v_mfma_f32_16x16x32_fp8_fp8 a[232:235], v[2:3], v[152:153], a[28:31]
	v_lshlrev_b16_e32 v1, 8, v1
	v_accvgpr_read_b32 v2, a243
	v_or_b32_sdwa v0, v111, v0 dst_sel:DWORD dst_unused:UNUSED_PAD src0_sel:BYTE_0 src1_sel:DWORD
	v_or_b32_sdwa v1, v2, v1 dst_sel:WORD_1 dst_unused:UNUSED_PAD src0_sel:BYTE_0 src1_sel:DWORD
	v_accvgpr_read_b32 v2, a252
	v_or_b32_sdwa v1, v0, v1 dst_sel:DWORD dst_unused:UNUSED_PAD src0_sel:WORD_0 src1_sel:DWORD
	v_lshrrev_b32_e32 v0, 8, v110
	v_lshlrev_b16_e32 v0, 8, v0
	v_lshlrev_b16_e32 v2, 8, v2
	v_accvgpr_read_b32 v3, a241
	v_or_b32_sdwa v0, v110, v0 dst_sel:DWORD dst_unused:UNUSED_PAD src0_sel:BYTE_0 src1_sel:DWORD
	v_or_b32_sdwa v2, v3, v2 dst_sel:WORD_1 dst_unused:UNUSED_PAD src0_sel:BYTE_0 src1_sel:DWORD
	v_lshlrev_b16_e32 v3, 8, v242
	v_or_b32_sdwa v0, v0, v2 dst_sel:DWORD dst_unused:UNUSED_PAD src0_sel:WORD_0 src1_sel:DWORD
	v_lshrrev_b32_e32 v2, 8, v113
	v_lshlrev_b16_e32 v2, 8, v2
	v_or_b32_sdwa v2, v113, v2 dst_sel:DWORD dst_unused:UNUSED_PAD src0_sel:BYTE_0 src1_sel:DWORD
	v_or_b32_sdwa v3, v4, v3 dst_sel:WORD_1 dst_unused:UNUSED_PAD src0_sel:BYTE_0 src1_sel:DWORD
	v_lshlrev_b16_e32 v4, 8, v254
	v_or_b32_sdwa v3, v2, v3 dst_sel:DWORD dst_unused:UNUSED_PAD src0_sel:WORD_0 src1_sel:DWORD
	v_lshrrev_b32_e32 v2, 8, v112
	v_lshlrev_b16_e32 v2, 8, v2
	v_or_b32_sdwa v2, v112, v2 dst_sel:DWORD dst_unused:UNUSED_PAD src0_sel:BYTE_0 src1_sel:DWORD
	v_or_b32_sdwa v4, v30, v4 dst_sel:WORD_1 dst_unused:UNUSED_PAD src0_sel:BYTE_0 src1_sel:DWORD
	v_mfma_f32_16x16x32_fp8_fp8 a[28:31], v[0:1], v[54:55], a[160:163]
	v_or_b32_sdwa v2, v2, v4 dst_sel:DWORD dst_unused:UNUSED_PAD src0_sel:WORD_0 src1_sel:DWORD
	scratch_load_dword v4, off, off offset:200 ; 4-byte Folded Reload
	s_nop 0
	v_mfma_f32_16x16x32_fp8_fp8 a[240:243], v[2:3], v[180:181], a[28:31]
	v_mfma_f32_16x16x32_fp8_fp8 a[28:31], v[0:1], v[178:179], a[164:167]
	;; [unrolled: 1-line block ×14, first 2 shown]
	scratch_load_dword v1, off, off offset:272 ; 4-byte Folded Reload
	v_lshrrev_b32_e32 v0, 8, v87
	v_lshlrev_b16_e32 v0, 8, v0
	v_mfma_f32_16x16x32_fp8_fp8 a[220:223], v[2:3], v[152:153], a[28:31]
	scratch_load_dword v2, off, off offset:264 ; 4-byte Folded Reload
	scratch_load_dword v3, off, off offset:252 ; 4-byte Folded Reload
	v_or_b32_sdwa v0, v87, v0 dst_sel:DWORD dst_unused:UNUSED_PAD src0_sel:BYTE_0 src1_sel:DWORD
	s_waitcnt vmcnt(2)
	v_lshlrev_b16_e32 v1, 8, v1
	s_waitcnt vmcnt(1)
	v_or_b32_sdwa v1, v2, v1 dst_sel:WORD_1 dst_unused:UNUSED_PAD src0_sel:BYTE_0 src1_sel:DWORD
	scratch_load_dword v2, off, off offset:260 ; 4-byte Folded Reload
	v_or_b32_sdwa v1, v0, v1 dst_sel:DWORD dst_unused:UNUSED_PAD src0_sel:WORD_0 src1_sel:DWORD
	v_lshrrev_b32_e32 v0, 8, v86
	v_lshlrev_b16_e32 v0, 8, v0
	v_or_b32_sdwa v0, v86, v0 dst_sel:DWORD dst_unused:UNUSED_PAD src0_sel:BYTE_0 src1_sel:DWORD
	s_waitcnt vmcnt(0)
	v_lshlrev_b16_e32 v2, 8, v2
	v_or_b32_sdwa v2, v3, v2 dst_sel:WORD_1 dst_unused:UNUSED_PAD src0_sel:BYTE_0 src1_sel:DWORD
	scratch_load_dword v3, off, off offset:204 ; 4-byte Folded Reload
	v_or_b32_sdwa v0, v0, v2 dst_sel:DWORD dst_unused:UNUSED_PAD src0_sel:WORD_0 src1_sel:DWORD
	v_lshrrev_b32_e32 v2, 8, v89
	v_lshlrev_b16_e32 v2, 8, v2
	v_or_b32_sdwa v2, v89, v2 dst_sel:DWORD dst_unused:UNUSED_PAD src0_sel:BYTE_0 src1_sel:DWORD
	v_mfma_f32_16x16x32_fp8_fp8 a[0:3], v[0:1], v[154:155], a[0:3]
	s_waitcnt vmcnt(0)
	v_lshlrev_b16_e32 v3, 8, v3
	v_or_b32_sdwa v3, v4, v3 dst_sel:WORD_1 dst_unused:UNUSED_PAD src0_sel:BYTE_0 src1_sel:DWORD
	scratch_load_dword v4, off, off offset:196 ; 4-byte Folded Reload
	v_or_b32_sdwa v3, v2, v3 dst_sel:DWORD dst_unused:UNUSED_PAD src0_sel:WORD_0 src1_sel:DWORD
	v_lshrrev_b32_e32 v2, 8, v88
	v_lshlrev_b16_e32 v2, 8, v2
	v_or_b32_sdwa v2, v88, v2 dst_sel:DWORD dst_unused:UNUSED_PAD src0_sel:BYTE_0 src1_sel:DWORD
	v_mfma_f32_16x16x32_fp8_fp8 a[28:31], v[0:1], v[54:55], a[204:207]
	s_waitcnt vmcnt(0)
	v_lshlrev_b16_e32 v4, 8, v4
	v_or_b32_sdwa v4, v5, v4 dst_sel:WORD_1 dst_unused:UNUSED_PAD src0_sel:BYTE_0 src1_sel:DWORD
	v_mfma_f32_16x16x32_fp8_fp8 a[24:27], v[0:1], v[178:179], a[24:27]
	v_or_b32_sdwa v2, v2, v4 dst_sel:DWORD dst_unused:UNUSED_PAD src0_sel:WORD_0 src1_sel:DWORD
	scratch_load_dword v4, off, off offset:352 ; 4-byte Folded Reload
	scratch_load_dword v5, off, off offset:156 ; 4-byte Folded Reload
	v_mfma_f32_16x16x32_fp8_fp8 a[20:23], v[0:1], v[174:175], a[20:23]
	v_mfma_f32_16x16x32_fp8_fp8 a[16:19], v[0:1], v[170:171], a[16:19]
	;; [unrolled: 1-line block ×6, first 2 shown]
	scratch_load_dword v1, off, off offset:228 ; 4-byte Folded Reload
	v_lshlrev_b16_e32 v0, 8, v248
	v_or_b32_sdwa v0, v107, v0 dst_sel:DWORD dst_unused:UNUSED_PAD src0_sel:BYTE_0 src1_sel:DWORD
	v_mfma_f32_16x16x32_fp8_fp8 a[248:251], v[2:3], v[180:181], a[28:31]
	s_waitcnt vmcnt(0)
	v_lshlrev_b16_e32 v1, 8, v1
	v_mfma_f32_16x16x32_fp8_fp8 a[252:255], v[2:3], v[176:177], a[24:27]
	v_mfma_f32_16x16x32_fp8_fp8 a[196:199], v[2:3], v[172:173], a[20:23]
	;; [unrolled: 1-line block ×6, first 2 shown]
	scratch_load_dword v2, off, off offset:224 ; 4-byte Folded Reload
	scratch_load_dword v3, off, off offset:304 ; 4-byte Folded Reload
	s_waitcnt vmcnt(1)
	v_or_b32_sdwa v1, v2, v1 dst_sel:WORD_1 dst_unused:UNUSED_PAD src0_sel:BYTE_0 src1_sel:DWORD
	s_nop 0
	v_or_b32_sdwa v107, v0, v1 dst_sel:DWORD dst_unused:UNUSED_PAD src0_sel:WORD_0 src1_sel:DWORD
	scratch_load_dword v1, off, off offset:220 ; 4-byte Folded Reload
	scratch_load_dword v2, off, off offset:236 ; 4-byte Folded Reload
	v_lshlrev_b16_e32 v0, 8, v231
	v_or_b32_sdwa v0, v106, v0 dst_sel:DWORD dst_unused:UNUSED_PAD src0_sel:BYTE_0 src1_sel:DWORD
	v_accvgpr_write_b32 a0, v218
	v_accvgpr_write_b32 a1, v219
	;; [unrolled: 1-line block ×4, first 2 shown]
	s_waitcnt vmcnt(1)
	v_lshlrev_b16_e32 v1, 8, v1
	s_waitcnt vmcnt(0)
	v_or_b32_sdwa v1, v2, v1 dst_sel:WORD_1 dst_unused:UNUSED_PAD src0_sel:BYTE_0 src1_sel:DWORD
	scratch_load_dword v2, off, off offset:328 ; 4-byte Folded Reload
	v_or_b32_sdwa v106, v0, v1 dst_sel:DWORD dst_unused:UNUSED_PAD src0_sel:WORD_0 src1_sel:DWORD
	scratch_load_dword v1, off, off offset:332 ; 4-byte Folded Reload
	v_lshlrev_b16_e32 v0, 8, v217
	v_or_b32_sdwa v0, v123, v0 dst_sel:DWORD dst_unused:UNUSED_PAD src0_sel:BYTE_0 src1_sel:DWORD
	s_waitcnt vmcnt(0)
	v_lshlrev_b16_e32 v1, 8, v1
	v_or_b32_sdwa v1, v2, v1 dst_sel:WORD_1 dst_unused:UNUSED_PAD src0_sel:BYTE_0 src1_sel:DWORD
	scratch_load_dword v2, off, off offset:320 ; 4-byte Folded Reload
	v_or_b32_sdwa v89, v0, v1 dst_sel:DWORD dst_unused:UNUSED_PAD src0_sel:WORD_0 src1_sel:DWORD
	scratch_load_dword v1, off, off offset:324 ; 4-byte Folded Reload
	v_lshlrev_b16_e32 v0, 8, v214
	v_or_b32_sdwa v0, v122, v0 dst_sel:DWORD dst_unused:UNUSED_PAD src0_sel:BYTE_0 src1_sel:DWORD
	s_waitcnt vmcnt(0)
	v_lshlrev_b16_e32 v1, 8, v1
	v_or_b32_sdwa v1, v2, v1 dst_sel:WORD_1 dst_unused:UNUSED_PAD src0_sel:BYTE_0 src1_sel:DWORD
	scratch_load_dword v2, off, off offset:232 ; 4-byte Folded Reload
	v_or_b32_sdwa v88, v0, v1 dst_sel:DWORD dst_unused:UNUSED_PAD src0_sel:WORD_0 src1_sel:DWORD
	scratch_load_dword v1, off, off offset:208 ; 4-byte Folded Reload
	v_lshrrev_b32_e32 v0, 8, v109
	v_lshlrev_b16_e32 v0, 8, v0
	v_or_b32_sdwa v0, v109, v0 dst_sel:DWORD dst_unused:UNUSED_PAD src0_sel:BYTE_0 src1_sel:DWORD
	v_mfma_f32_16x16x32_fp8_fp8 a[0:3], v[106:107], v[88:89], a[0:3]
	s_waitcnt vmcnt(0)
	v_lshlrev_b16_e32 v1, 8, v1
	v_or_b32_sdwa v1, v2, v1 dst_sel:WORD_1 dst_unused:UNUSED_PAD src0_sel:BYTE_0 src1_sel:DWORD
	scratch_load_dword v2, off, off offset:212 ; 4-byte Folded Reload
	v_or_b32_sdwa v37, v0, v1 dst_sel:DWORD dst_unused:UNUSED_PAD src0_sel:WORD_0 src1_sel:DWORD
	scratch_load_dword v1, off, off offset:216 ; 4-byte Folded Reload
	v_lshlrev_b16_e32 v0, 8, v194
	v_or_b32_sdwa v0, v108, v0 dst_sel:DWORD dst_unused:UNUSED_PAD src0_sel:BYTE_0 src1_sel:DWORD
	s_waitcnt vmcnt(0)
	v_lshlrev_b16_e32 v1, 8, v1
	v_or_b32_sdwa v1, v2, v1 dst_sel:WORD_1 dst_unused:UNUSED_PAD src0_sel:BYTE_0 src1_sel:DWORD
	scratch_load_dword v2, off, off offset:300 ; 4-byte Folded Reload
	v_or_b32_sdwa v36, v0, v1 dst_sel:DWORD dst_unused:UNUSED_PAD src0_sel:WORD_0 src1_sel:DWORD
	scratch_load_dword v1, off, off offset:400 ; 4-byte Folded Reload
	v_lshlrev_b16_e32 v0, 8, v193
	v_or_b32_sdwa v0, v125, v0 dst_sel:DWORD dst_unused:UNUSED_PAD src0_sel:BYTE_0 src1_sel:DWORD
	s_waitcnt vmcnt(0)
	v_lshlrev_b16_e32 v1, 8, v1
	v_or_b32_sdwa v1, v2, v1 dst_sel:WORD_1 dst_unused:UNUSED_PAD src0_sel:BYTE_0 src1_sel:DWORD
	scratch_load_dword v2, off, off offset:292 ; 4-byte Folded Reload
	v_or_b32_sdwa v109, v0, v1 dst_sel:DWORD dst_unused:UNUSED_PAD src0_sel:WORD_0 src1_sel:DWORD
	scratch_load_dword v1, off, off offset:312 ; 4-byte Folded Reload
	v_lshrrev_b32_e32 v0, 8, v124
	v_lshlrev_b16_e32 v0, 8, v0
	v_or_b32_sdwa v0, v124, v0 dst_sel:DWORD dst_unused:UNUSED_PAD src0_sel:BYTE_0 src1_sel:DWORD
	s_waitcnt vmcnt(0)
	v_lshlrev_b16_e32 v1, 8, v1
	v_or_b32_sdwa v1, v2, v1 dst_sel:WORD_1 dst_unused:UNUSED_PAD src0_sel:BYTE_0 src1_sel:DWORD
	scratch_load_dword v2, off, off offset:316 ; 4-byte Folded Reload
	v_or_b32_sdwa v108, v0, v1 dst_sel:DWORD dst_unused:UNUSED_PAD src0_sel:WORD_0 src1_sel:DWORD
	scratch_load_dword v1, off, off offset:384 ; 4-byte Folded Reload
	v_lshlrev_b16_e32 v0, 8, v230
	v_or_b32_sdwa v0, v115, v0 dst_sel:DWORD dst_unused:UNUSED_PAD src0_sel:BYTE_0 src1_sel:DWORD
	v_mfma_f32_16x16x32_fp8_fp8 a[32:35], v[36:37], v[108:109], a[0:3]
	s_waitcnt vmcnt(0)
	v_lshlrev_b16_e32 v1, 8, v1
	v_or_b32_sdwa v1, v2, v1 dst_sel:WORD_1 dst_unused:UNUSED_PAD src0_sel:BYTE_0 src1_sel:DWORD
	scratch_load_dword v2, off, off offset:308 ; 4-byte Folded Reload
	v_or_b32_sdwa v1, v0, v1 dst_sel:DWORD dst_unused:UNUSED_PAD src0_sel:WORD_0 src1_sel:DWORD
	v_lshlrev_b16_e32 v0, 8, v228
	v_or_b32_sdwa v0, v114, v0 dst_sel:DWORD dst_unused:UNUSED_PAD src0_sel:BYTE_0 src1_sel:DWORD
	v_accvgpr_write_b32 a0, v250
	v_accvgpr_write_b32 a1, v251
	;; [unrolled: 1-line block ×4, first 2 shown]
	s_waitcnt vmcnt(0)
	v_lshlrev_b16_e32 v2, 8, v2
	v_or_b32_sdwa v2, v3, v2 dst_sel:WORD_1 dst_unused:UNUSED_PAD src0_sel:BYTE_0 src1_sel:DWORD
	scratch_load_dword v3, off, off offset:368 ; 4-byte Folded Reload
	v_or_b32_sdwa v0, v0, v2 dst_sel:DWORD dst_unused:UNUSED_PAD src0_sel:WORD_0 src1_sel:DWORD
	v_lshlrev_b16_e32 v2, 8, v229
	v_or_b32_sdwa v2, v117, v2 dst_sel:DWORD dst_unused:UNUSED_PAD src0_sel:BYTE_0 src1_sel:DWORD
	v_mfma_f32_16x16x32_fp8_fp8 a[0:3], v[106:107], v[0:1], a[0:3]
	s_waitcnt vmcnt(0)
	v_lshlrev_b16_e32 v3, 8, v3
	v_or_b32_sdwa v3, v4, v3 dst_sel:WORD_1 dst_unused:UNUSED_PAD src0_sel:BYTE_0 src1_sel:DWORD
	scratch_load_dword v4, off, off offset:296 ; 4-byte Folded Reload
	v_or_b32_sdwa v111, v2, v3 dst_sel:DWORD dst_unused:UNUSED_PAD src0_sel:WORD_0 src1_sel:DWORD
	scratch_load_dword v3, off, off offset:336 ; 4-byte Folded Reload
	v_lshlrev_b16_e32 v2, 8, v227
	v_or_b32_sdwa v2, v116, v2 dst_sel:DWORD dst_unused:UNUSED_PAD src0_sel:BYTE_0 src1_sel:DWORD
	s_waitcnt vmcnt(0)
	v_lshlrev_b16_e32 v3, 8, v3
	v_or_b32_sdwa v3, v4, v3 dst_sel:WORD_1 dst_unused:UNUSED_PAD src0_sel:BYTE_0 src1_sel:DWORD
	scratch_load_dword v4, off, off offset:516 ; 4-byte Folded Reload
	v_or_b32_sdwa v110, v2, v3 dst_sel:DWORD dst_unused:UNUSED_PAD src0_sel:WORD_0 src1_sel:DWORD
	v_lshlrev_b16_e32 v2, 8, v211
	v_lshlrev_b16_e32 v3, 8, v216
	v_or_b32_sdwa v2, v143, v2 dst_sel:DWORD dst_unused:UNUSED_PAD src0_sel:BYTE_0 src1_sel:DWORD
	v_or_b32_sdwa v3, v200, v3 dst_sel:WORD_1 dst_unused:UNUSED_PAD src0_sel:BYTE_0 src1_sel:DWORD
	v_mfma_f32_16x16x32_fp8_fp8 a[12:15], v[36:37], v[110:111], a[0:3]
	v_or_b32_sdwa v45, v2, v3 dst_sel:DWORD dst_unused:UNUSED_PAD src0_sel:WORD_0 src1_sel:DWORD
	v_lshlrev_b16_e32 v2, 8, v204
	v_lshlrev_b16_e32 v3, 8, v196
	v_or_b32_sdwa v2, v142, v2 dst_sel:DWORD dst_unused:UNUSED_PAD src0_sel:BYTE_0 src1_sel:DWORD
	v_or_b32_sdwa v3, v195, v3 dst_sel:WORD_1 dst_unused:UNUSED_PAD src0_sel:BYTE_0 src1_sel:DWORD
	v_accvgpr_write_b32 a0, v244
	v_or_b32_sdwa v44, v2, v3 dst_sel:DWORD dst_unused:UNUSED_PAD src0_sel:WORD_0 src1_sel:DWORD
	v_lshlrev_b16_e32 v2, 8, v203
	v_lshlrev_b16_e32 v3, 8, v198
	v_or_b32_sdwa v2, v145, v2 dst_sel:DWORD dst_unused:UNUSED_PAD src0_sel:BYTE_0 src1_sel:DWORD
	v_or_b32_sdwa v3, v197, v3 dst_sel:WORD_1 dst_unused:UNUSED_PAD src0_sel:BYTE_0 src1_sel:DWORD
	v_accvgpr_write_b32 a1, v245
	v_or_b32_sdwa v39, v2, v3 dst_sel:DWORD dst_unused:UNUSED_PAD src0_sel:WORD_0 src1_sel:DWORD
	scratch_load_dword v3, off, off offset:532 ; 4-byte Folded Reload
	v_lshlrev_b16_e32 v2, 8, v202
	v_or_b32_sdwa v2, v144, v2 dst_sel:DWORD dst_unused:UNUSED_PAD src0_sel:BYTE_0 src1_sel:DWORD
	v_accvgpr_write_b32 a2, v246
	v_accvgpr_write_b32 a3, v247
	s_waitcnt vmcnt(0)
	v_lshlrev_b16_e32 v3, 8, v3
	v_or_b32_sdwa v3, v4, v3 dst_sel:WORD_1 dst_unused:UNUSED_PAD src0_sel:BYTE_0 src1_sel:DWORD
	scratch_load_dword v4, off, off offset:500 ; 4-byte Folded Reload
	v_or_b32_sdwa v38, v2, v3 dst_sel:DWORD dst_unused:UNUSED_PAD src0_sel:WORD_0 src1_sel:DWORD
	v_lshlrev_b16_e32 v2, 8, v232
	v_lshlrev_b16_e32 v3, 8, v201
	v_or_b32_sdwa v2, v131, v2 dst_sel:DWORD dst_unused:UNUSED_PAD src0_sel:BYTE_0 src1_sel:DWORD
	v_mfma_f32_16x16x32_fp8_fp8 a[0:3], v[106:107], v[44:45], a[0:3]
	s_waitcnt vmcnt(0)
	v_or_b32_sdwa v3, v4, v3 dst_sel:WORD_1 dst_unused:UNUSED_PAD src0_sel:BYTE_0 src1_sel:DWORD
	s_nop 0
	v_or_b32_sdwa v9, v2, v3 dst_sel:DWORD dst_unused:UNUSED_PAD src0_sel:WORD_0 src1_sel:DWORD
	v_lshlrev_b16_e32 v2, 8, v213
	v_lshlrev_b16_e32 v3, 8, v208
	v_or_b32_sdwa v2, v130, v2 dst_sel:DWORD dst_unused:UNUSED_PAD src0_sel:BYTE_0 src1_sel:DWORD
	v_or_b32_sdwa v3, v199, v3 dst_sel:WORD_1 dst_unused:UNUSED_PAD src0_sel:BYTE_0 src1_sel:DWORD
	scratch_load_dword v4, off, off offset:496 ; 4-byte Folded Reload
	v_or_b32_sdwa v8, v2, v3 dst_sel:DWORD dst_unused:UNUSED_PAD src0_sel:WORD_0 src1_sel:DWORD
	scratch_load_dword v3, off, off offset:996 ; 4-byte Folded Reload
	v_lshrrev_b32_e32 v2, 8, v133
	v_lshlrev_b16_e32 v2, 8, v2
	v_or_b32_sdwa v2, v133, v2 dst_sel:DWORD dst_unused:UNUSED_PAD src0_sel:BYTE_0 src1_sel:DWORD
	v_mfma_f32_16x16x32_fp8_fp8 a[28:31], v[36:37], v[38:39], a[0:3]
	s_waitcnt vmcnt(0)
	v_lshlrev_b16_e32 v3, 8, v3
	v_or_b32_sdwa v3, v4, v3 dst_sel:WORD_1 dst_unused:UNUSED_PAD src0_sel:BYTE_0 src1_sel:DWORD
	scratch_load_dword v4, off, off offset:984 ; 4-byte Folded Reload
	v_or_b32_sdwa v61, v2, v3 dst_sel:DWORD dst_unused:UNUSED_PAD src0_sel:WORD_0 src1_sel:DWORD
	scratch_load_dword v3, off, off offset:992 ; 4-byte Folded Reload
	v_lshrrev_b32_e32 v2, 8, v132
	v_lshlrev_b16_e32 v2, 8, v2
	v_or_b32_sdwa v2, v132, v2 dst_sel:DWORD dst_unused:UNUSED_PAD src0_sel:BYTE_0 src1_sel:DWORD
	v_accvgpr_write_b32 a0, v22
	v_accvgpr_write_b32 a1, v23
	v_accvgpr_write_b32 a2, v24
	v_accvgpr_write_b32 a3, v25
	s_waitcnt vmcnt(0)
	v_lshlrev_b16_e32 v3, 8, v3
	v_or_b32_sdwa v3, v4, v3 dst_sel:WORD_1 dst_unused:UNUSED_PAD src0_sel:BYTE_0 src1_sel:DWORD
	scratch_load_dword v4, off, off offset:972 ; 4-byte Folded Reload
	v_or_b32_sdwa v60, v2, v3 dst_sel:DWORD dst_unused:UNUSED_PAD src0_sel:WORD_0 src1_sel:DWORD
	scratch_load_dword v3, off, off offset:976 ; 4-byte Folded Reload
	v_lshrrev_b32_e32 v2, 8, v99
	v_lshlrev_b16_e32 v2, 8, v2
	v_or_b32_sdwa v2, v99, v2 dst_sel:DWORD dst_unused:UNUSED_PAD src0_sel:BYTE_0 src1_sel:DWORD
	v_mfma_f32_16x16x32_fp8_fp8 a[0:3], v[106:107], v[8:9], a[0:3]
	s_waitcnt vmcnt(0)
	v_lshlrev_b16_e32 v3, 8, v3
	v_or_b32_sdwa v3, v4, v3 dst_sel:WORD_1 dst_unused:UNUSED_PAD src0_sel:BYTE_0 src1_sel:DWORD
	scratch_load_dword v4, off, off offset:948 ; 4-byte Folded Reload
	v_or_b32_sdwa v87, v2, v3 dst_sel:DWORD dst_unused:UNUSED_PAD src0_sel:WORD_0 src1_sel:DWORD
	scratch_load_dword v3, off, off offset:952 ; 4-byte Folded Reload
	v_lshrrev_b32_e32 v2, 8, v98
	v_lshlrev_b16_e32 v2, 8, v2
	v_or_b32_sdwa v2, v98, v2 dst_sel:DWORD dst_unused:UNUSED_PAD src0_sel:BYTE_0 src1_sel:DWORD
	v_mfma_f32_16x16x32_fp8_fp8 a[20:23], v[36:37], v[60:61], a[0:3]
	s_waitcnt vmcnt(0)
	v_lshlrev_b16_e32 v3, 8, v3
	v_or_b32_sdwa v3, v4, v3 dst_sel:WORD_1 dst_unused:UNUSED_PAD src0_sel:BYTE_0 src1_sel:DWORD
	scratch_load_dword v4, off, off offset:432 ; 4-byte Folded Reload
	v_or_b32_sdwa v86, v2, v3 dst_sel:DWORD dst_unused:UNUSED_PAD src0_sel:WORD_0 src1_sel:DWORD
	scratch_load_dword v3, off, off offset:944 ; 4-byte Folded Reload
	v_lshrrev_b32_e32 v2, 8, v101
	v_lshlrev_b16_e32 v2, 8, v2
	v_or_b32_sdwa v2, v101, v2 dst_sel:DWORD dst_unused:UNUSED_PAD src0_sel:BYTE_0 src1_sel:DWORD
	v_accvgpr_write_b32 a0, v12
	v_accvgpr_write_b32 a1, v13
	v_accvgpr_write_b32 a2, v14
	v_accvgpr_write_b32 a3, v15
	s_waitcnt vmcnt(0)
	v_lshlrev_b16_e32 v3, 8, v3
	v_or_b32_sdwa v3, v4, v3 dst_sel:WORD_1 dst_unused:UNUSED_PAD src0_sel:BYTE_0 src1_sel:DWORD
	scratch_load_dword v4, off, off offset:288 ; 4-byte Folded Reload
	v_or_b32_sdwa v21, v2, v3 dst_sel:DWORD dst_unused:UNUSED_PAD src0_sel:WORD_0 src1_sel:DWORD
	scratch_load_dword v3, off, off offset:768 ; 4-byte Folded Reload
	v_lshrrev_b32_e32 v2, 8, v100
	v_lshlrev_b16_e32 v2, 8, v2
	v_or_b32_sdwa v2, v100, v2 dst_sel:DWORD dst_unused:UNUSED_PAD src0_sel:BYTE_0 src1_sel:DWORD
	v_mfma_f32_16x16x32_fp8_fp8 a[0:3], v[106:107], v[86:87], a[0:3]
	s_waitcnt vmcnt(0)
	v_lshlrev_b16_e32 v3, 8, v3
	;; [unrolled: 33-line block ×3, first 2 shown]
	v_or_b32_sdwa v3, v4, v3 dst_sel:WORD_1 dst_unused:UNUSED_PAD src0_sel:BYTE_0 src1_sel:DWORD
	scratch_load_dword v4, off, off offset:248 ; 4-byte Folded Reload
	v_or_b32_sdwa v25, v2, v3 dst_sel:DWORD dst_unused:UNUSED_PAD src0_sel:WORD_0 src1_sel:DWORD
	scratch_load_dword v3, off, off offset:700 ; 4-byte Folded Reload
	v_lshrrev_b32_e32 v2, 8, v92
	v_lshlrev_b16_e32 v2, 8, v2
	v_or_b32_sdwa v2, v92, v2 dst_sel:DWORD dst_unused:UNUSED_PAD src0_sel:BYTE_0 src1_sel:DWORD
	s_waitcnt vmcnt(0)
	v_lshlrev_b16_e32 v3, 8, v3
	v_or_b32_sdwa v3, v4, v3 dst_sel:WORD_1 dst_unused:UNUSED_PAD src0_sel:BYTE_0 src1_sel:DWORD
	scratch_load_dword v4, off, off offset:276 ; 4-byte Folded Reload
	v_or_b32_sdwa v24, v2, v3 dst_sel:DWORD dst_unused:UNUSED_PAD src0_sel:WORD_0 src1_sel:DWORD
	scratch_load_dword v3, off, off offset:692 ; 4-byte Folded Reload
	v_lshrrev_b32_e32 v2, 8, v95
	v_lshlrev_b16_e32 v2, 8, v2
	v_or_b32_sdwa v2, v95, v2 dst_sel:DWORD dst_unused:UNUSED_PAD src0_sel:BYTE_0 src1_sel:DWORD
	v_mfma_f32_16x16x32_fp8_fp8 a[8:11], v[36:37], v[24:25], a[0:3]
	s_waitcnt vmcnt(0)
	v_lshlrev_b16_e32 v3, 8, v3
	v_or_b32_sdwa v3, v4, v3 dst_sel:WORD_1 dst_unused:UNUSED_PAD src0_sel:BYTE_0 src1_sel:DWORD
	scratch_load_dword v4, off, off offset:268 ; 4-byte Folded Reload
	v_or_b32_sdwa v47, v2, v3 dst_sel:DWORD dst_unused:UNUSED_PAD src0_sel:WORD_0 src1_sel:DWORD
	scratch_load_dword v3, off, off offset:684 ; 4-byte Folded Reload
	v_lshrrev_b32_e32 v2, 8, v94
	v_lshlrev_b16_e32 v2, 8, v2
	v_or_b32_sdwa v2, v94, v2 dst_sel:DWORD dst_unused:UNUSED_PAD src0_sel:BYTE_0 src1_sel:DWORD
	v_accvgpr_write_b32 a0, v186
	v_accvgpr_write_b32 a1, v187
	v_accvgpr_write_b32 a2, v188
	v_accvgpr_write_b32 a3, v189
	s_waitcnt vmcnt(0)
	v_lshlrev_b16_e32 v3, 8, v3
	v_or_b32_sdwa v3, v4, v3 dst_sel:WORD_1 dst_unused:UNUSED_PAD src0_sel:BYTE_0 src1_sel:DWORD
	scratch_load_dword v4, off, off offset:244 ; 4-byte Folded Reload
	v_or_b32_sdwa v46, v2, v3 dst_sel:DWORD dst_unused:UNUSED_PAD src0_sel:WORD_0 src1_sel:DWORD
	scratch_load_dword v3, off, off offset:680 ; 4-byte Folded Reload
	v_lshrrev_b32_e32 v2, 8, v97
	v_lshlrev_b16_e32 v2, 8, v2
	v_or_b32_sdwa v2, v97, v2 dst_sel:DWORD dst_unused:UNUSED_PAD src0_sel:BYTE_0 src1_sel:DWORD
	v_mfma_f32_16x16x32_fp8_fp8 a[0:3], v[106:107], v[46:47], a[0:3]
	s_waitcnt vmcnt(0)
	v_lshlrev_b16_e32 v3, 8, v3
	v_or_b32_sdwa v3, v4, v3 dst_sel:WORD_1 dst_unused:UNUSED_PAD src0_sel:BYTE_0 src1_sel:DWORD
	scratch_load_dword v4, off, off offset:240 ; 4-byte Folded Reload
	v_or_b32_sdwa v49, v2, v3 dst_sel:DWORD dst_unused:UNUSED_PAD src0_sel:WORD_0 src1_sel:DWORD
	scratch_load_dword v3, off, off offset:416 ; 4-byte Folded Reload
	v_lshrrev_b32_e32 v2, 8, v96
	v_lshlrev_b16_e32 v2, 8, v2
	v_or_b32_sdwa v2, v96, v2 dst_sel:DWORD dst_unused:UNUSED_PAD src0_sel:BYTE_0 src1_sel:DWORD
	s_waitcnt vmcnt(0)
	v_lshlrev_b16_e32 v3, 8, v3
	v_or_b32_sdwa v3, v4, v3 dst_sel:WORD_1 dst_unused:UNUSED_PAD src0_sel:BYTE_0 src1_sel:DWORD
	scratch_load_dword v4, off, off offset:676 ; 4-byte Folded Reload
	v_or_b32_sdwa v48, v2, v3 dst_sel:DWORD dst_unused:UNUSED_PAD src0_sel:WORD_0 src1_sel:DWORD
	scratch_load_dword v3, off, off offset:564 ; 4-byte Folded Reload
	v_lshrrev_b32_e32 v2, 8, v103
	v_lshlrev_b16_e32 v2, 8, v2
	v_or_b32_sdwa v2, v103, v2 dst_sel:DWORD dst_unused:UNUSED_PAD src0_sel:BYTE_0 src1_sel:DWORD
	v_mfma_f32_16x16x32_fp8_fp8 a[16:19], v[36:37], v[48:49], a[0:3]
	s_waitcnt vmcnt(0)
	v_lshlrev_b16_e32 v3, 8, v3
	v_or_b32_sdwa v3, v4, v3 dst_sel:WORD_1 dst_unused:UNUSED_PAD src0_sel:BYTE_0 src1_sel:DWORD
	scratch_load_dword v4, off, off offset:480 ; 4-byte Folded Reload
	v_or_b32_sdwa v33, v2, v3 dst_sel:DWORD dst_unused:UNUSED_PAD src0_sel:WORD_0 src1_sel:DWORD
	scratch_load_dword v3, off, off offset:548 ; 4-byte Folded Reload
	v_lshrrev_b32_e32 v2, 8, v102
	v_lshlrev_b16_e32 v2, 8, v2
	v_or_b32_sdwa v2, v102, v2 dst_sel:DWORD dst_unused:UNUSED_PAD src0_sel:BYTE_0 src1_sel:DWORD
	;; [unrolled: 19-line block ×3, first 2 shown]
	s_waitcnt vmcnt(0)
	v_lshlrev_b16_e32 v3, 8, v3
	v_or_b32_sdwa v3, v4, v3 dst_sel:WORD_1 dst_unused:UNUSED_PAD src0_sel:BYTE_0 src1_sel:DWORD
	scratch_load_dword v4, off, off offset:164 ; 4-byte Folded Reload
	v_or_b32_sdwa v34, v2, v3 dst_sel:DWORD dst_unused:UNUSED_PAD src0_sel:WORD_0 src1_sel:DWORD
	scratch_load_dword v3, off, off offset:192 ; 4-byte Folded Reload
	v_lshrrev_b32_e32 v2, 8, v75
	v_lshlrev_b16_e32 v2, 8, v2
	v_or_b32_sdwa v2, v75, v2 dst_sel:DWORD dst_unused:UNUSED_PAD src0_sel:BYTE_0 src1_sel:DWORD
	v_mfma_f32_16x16x32_fp8_fp8 a[0:3], v[36:37], v[34:35], a[0:3]
	s_waitcnt vmcnt(0)
	v_lshlrev_b16_e32 v3, 8, v3
	v_or_b32_sdwa v3, v4, v3 dst_sel:WORD_1 dst_unused:UNUSED_PAD src0_sel:BYTE_0 src1_sel:DWORD
	scratch_load_dword v4, off, off offset:188 ; 4-byte Folded Reload
	v_or_b32_sdwa v3, v2, v3 dst_sel:DWORD dst_unused:UNUSED_PAD src0_sel:WORD_0 src1_sel:DWORD
	v_lshrrev_b32_e32 v2, 8, v74
	v_lshlrev_b16_e32 v2, 8, v2
	v_or_b32_sdwa v2, v74, v2 dst_sel:DWORD dst_unused:UNUSED_PAD src0_sel:BYTE_0 src1_sel:DWORD
	s_waitcnt vmcnt(0)
	v_lshlrev_b16_e32 v4, 8, v4
	v_or_b32_sdwa v4, v5, v4 dst_sel:WORD_1 dst_unused:UNUSED_PAD src0_sel:BYTE_0 src1_sel:DWORD
	scratch_load_dword v5, off, off offset:184 ; 4-byte Folded Reload
	v_or_b32_sdwa v2, v2, v4 dst_sel:DWORD dst_unused:UNUSED_PAD src0_sel:WORD_0 src1_sel:DWORD
	v_lshrrev_b32_e32 v4, 8, v77
	v_lshlrev_b16_e32 v4, 8, v4
	v_or_b32_sdwa v4, v77, v4 dst_sel:DWORD dst_unused:UNUSED_PAD src0_sel:BYTE_0 src1_sel:DWORD
	v_mfma_f32_16x16x32_fp8_fp8 a[4:7], v[2:3], v[88:89], a[152:155]
	s_waitcnt vmcnt(0)
	v_lshlrev_b16_e32 v5, 8, v5
	v_or_b32_sdwa v5, v6, v5 dst_sel:WORD_1 dst_unused:UNUSED_PAD src0_sel:BYTE_0 src1_sel:DWORD
	scratch_load_dword v6, off, off offset:180 ; 4-byte Folded Reload
	v_or_b32_sdwa v5, v4, v5 dst_sel:DWORD dst_unused:UNUSED_PAD src0_sel:WORD_0 src1_sel:DWORD
	v_lshrrev_b32_e32 v4, 8, v76
	v_lshlrev_b16_e32 v4, 8, v4
	v_or_b32_sdwa v4, v76, v4 dst_sel:DWORD dst_unused:UNUSED_PAD src0_sel:BYTE_0 src1_sel:DWORD
	v_mfma_f32_16x16x32_fp8_fp8 a[80:83], v[2:3], v[32:33], a[80:83]
	s_waitcnt vmcnt(0)
	v_lshlrev_b16_e32 v6, 8, v6
	v_or_b32_sdwa v6, v7, v6 dst_sel:WORD_1 dst_unused:UNUSED_PAD src0_sel:BYTE_0 src1_sel:DWORD
	scratch_load_dword v7, off, off offset:64 ; 4-byte Folded Reload
	v_or_b32_sdwa v4, v4, v6 dst_sel:DWORD dst_unused:UNUSED_PAD src0_sel:WORD_0 src1_sel:DWORD
	scratch_load_dword v6, off, off offset:72 ; 4-byte Folded Reload
	s_nop 0
	v_mfma_f32_16x16x32_fp8_fp8 a[164:167], v[4:5], v[108:109], a[4:7]
	v_mfma_f32_16x16x32_fp8_fp8 a[4:7], v[2:3], v[0:1], a[244:247]
	;; [unrolled: 1-line block ×12, first 2 shown]
	scratch_load_dword v3, off, off offset:100 ; 4-byte Folded Reload
	v_lshrrev_b32_e32 v2, 8, v83
	v_lshlrev_b16_e32 v2, 8, v2
	v_mfma_f32_16x16x32_fp8_fp8 a[4:7], v[4:5], v[48:49], a[4:7]
	v_or_b32_sdwa v2, v83, v2 dst_sel:DWORD dst_unused:UNUSED_PAD src0_sel:BYTE_0 src1_sel:DWORD
	s_waitcnt vmcnt(0)
	v_lshlrev_b16_e32 v3, 8, v3
	v_mfma_f32_16x16x32_fp8_fp8 a[80:83], v[4:5], v[34:35], a[80:83]
	scratch_load_dword v4, off, off offset:144 ; 4-byte Folded Reload
	scratch_load_dword v5, off, off offset:92 ; 4-byte Folded Reload
	s_waitcnt vmcnt(1)
	v_or_b32_sdwa v3, v4, v3 dst_sel:WORD_1 dst_unused:UNUSED_PAD src0_sel:BYTE_0 src1_sel:DWORD
	scratch_load_dword v4, off, off offset:84 ; 4-byte Folded Reload
	v_or_b32_sdwa v3, v2, v3 dst_sel:DWORD dst_unused:UNUSED_PAD src0_sel:WORD_0 src1_sel:DWORD
	v_lshrrev_b32_e32 v2, 8, v82
	v_lshlrev_b16_e32 v2, 8, v2
	v_or_b32_sdwa v2, v82, v2 dst_sel:DWORD dst_unused:UNUSED_PAD src0_sel:BYTE_0 src1_sel:DWORD
	s_waitcnt vmcnt(0)
	v_lshlrev_b16_e32 v4, 8, v4
	v_or_b32_sdwa v4, v5, v4 dst_sel:WORD_1 dst_unused:UNUSED_PAD src0_sel:BYTE_0 src1_sel:DWORD
	scratch_load_dword v5, off, off offset:76 ; 4-byte Folded Reload
	v_or_b32_sdwa v2, v2, v4 dst_sel:DWORD dst_unused:UNUSED_PAD src0_sel:WORD_0 src1_sel:DWORD
	v_lshrrev_b32_e32 v4, 8, v85
	v_lshlrev_b16_e32 v4, 8, v4
	v_or_b32_sdwa v4, v85, v4 dst_sel:DWORD dst_unused:UNUSED_PAD src0_sel:BYTE_0 src1_sel:DWORD
	v_mfma_f32_16x16x32_fp8_fp8 a[108:111], v[2:3], v[88:89], a[116:119]
	s_waitcnt vmcnt(0)
	v_lshlrev_b16_e32 v5, 8, v5
	v_or_b32_sdwa v5, v6, v5 dst_sel:WORD_1 dst_unused:UNUSED_PAD src0_sel:BYTE_0 src1_sel:DWORD
	scratch_load_dword v6, off, off offset:68 ; 4-byte Folded Reload
	v_or_b32_sdwa v5, v4, v5 dst_sel:DWORD dst_unused:UNUSED_PAD src0_sel:WORD_0 src1_sel:DWORD
	v_lshrrev_b32_e32 v4, 8, v84
	v_lshlrev_b16_e32 v4, 8, v4
	v_or_b32_sdwa v4, v84, v4 dst_sel:DWORD dst_unused:UNUSED_PAD src0_sel:BYTE_0 src1_sel:DWORD
	v_mfma_f32_16x16x32_fp8_fp8 a[100:103], v[2:3], v[8:9], a[100:103]
	s_waitcnt vmcnt(0)
	v_lshlrev_b16_e32 v6, 8, v6
	v_or_b32_sdwa v6, v7, v6 dst_sel:WORD_1 dst_unused:UNUSED_PAD src0_sel:BYTE_0 src1_sel:DWORD
	v_mfma_f32_16x16x32_fp8_fp8 a[96:99], v[2:3], v[86:87], a[96:99]
	v_or_b32_sdwa v4, v4, v6 dst_sel:DWORD dst_unused:UNUSED_PAD src0_sel:WORD_0 src1_sel:DWORD
	scratch_load_dword v6, off, off offset:132 ; 4-byte Folded Reload
	scratch_load_dword v7, off, off offset:120 ; 4-byte Folded Reload
	v_mfma_f32_16x16x32_fp8_fp8 a[156:159], v[4:5], v[108:109], a[108:111]
	v_mfma_f32_16x16x32_fp8_fp8 a[108:111], v[2:3], v[0:1], a[128:131]
	;; [unrolled: 1-line block ×7, first 2 shown]
	scratch_load_dword v3, off, off offset:60 ; 4-byte Folded Reload
	v_lshrrev_b32_e32 v2, 8, v79
	v_lshlrev_b16_e32 v2, 8, v2
	v_mfma_f32_16x16x32_fp8_fp8 a[148:151], v[4:5], v[38:39], a[108:111]
	v_or_b32_sdwa v2, v79, v2 dst_sel:DWORD dst_unused:UNUSED_PAD src0_sel:BYTE_0 src1_sel:DWORD
	s_waitcnt vmcnt(0)
	v_lshlrev_b16_e32 v3, 8, v3
	v_mfma_f32_16x16x32_fp8_fp8 a[144:147], v[4:5], v[60:61], a[100:103]
	v_mfma_f32_16x16x32_fp8_fp8 a[140:143], v[4:5], v[20:21], a[96:99]
	;; [unrolled: 1-line block ×5, first 2 shown]
	scratch_load_dword v4, off, off offset:56 ; 4-byte Folded Reload
	scratch_load_dword v5, off, off offset:48 ; 4-byte Folded Reload
	s_waitcnt vmcnt(1)
	v_or_b32_sdwa v3, v4, v3 dst_sel:WORD_1 dst_unused:UNUSED_PAD src0_sel:BYTE_0 src1_sel:DWORD
	scratch_load_dword v4, off, off offset:52 ; 4-byte Folded Reload
	v_or_b32_sdwa v3, v2, v3 dst_sel:DWORD dst_unused:UNUSED_PAD src0_sel:WORD_0 src1_sel:DWORD
	v_lshrrev_b32_e32 v2, 8, v78
	v_lshlrev_b16_e32 v2, 8, v2
	v_or_b32_sdwa v2, v78, v2 dst_sel:DWORD dst_unused:UNUSED_PAD src0_sel:BYTE_0 src1_sel:DWORD
	s_waitcnt vmcnt(0)
	v_lshlrev_b16_e32 v4, 8, v4
	v_or_b32_sdwa v4, v5, v4 dst_sel:WORD_1 dst_unused:UNUSED_PAD src0_sel:BYTE_0 src1_sel:DWORD
	scratch_load_dword v5, off, off offset:140 ; 4-byte Folded Reload
	v_or_b32_sdwa v2, v2, v4 dst_sel:DWORD dst_unused:UNUSED_PAD src0_sel:WORD_0 src1_sel:DWORD
	v_lshrrev_b32_e32 v4, 8, v81
	v_lshlrev_b16_e32 v4, 8, v4
	v_or_b32_sdwa v4, v81, v4 dst_sel:DWORD dst_unused:UNUSED_PAD src0_sel:BYTE_0 src1_sel:DWORD
	v_mfma_f32_16x16x32_fp8_fp8 a[64:67], v[2:3], v[0:1], a[64:67]
	s_waitcnt vmcnt(0)
	v_lshlrev_b16_e32 v5, 8, v5
	v_or_b32_sdwa v5, v6, v5 dst_sel:WORD_1 dst_unused:UNUSED_PAD src0_sel:BYTE_0 src1_sel:DWORD
	scratch_load_dword v6, off, off offset:128 ; 4-byte Folded Reload
	v_or_b32_sdwa v5, v4, v5 dst_sel:DWORD dst_unused:UNUSED_PAD src0_sel:WORD_0 src1_sel:DWORD
	v_lshrrev_b32_e32 v4, 8, v80
	v_lshlrev_b16_e32 v4, 8, v4
	v_or_b32_sdwa v4, v80, v4 dst_sel:DWORD dst_unused:UNUSED_PAD src0_sel:BYTE_0 src1_sel:DWORD
	v_mfma_f32_16x16x32_fp8_fp8 a[68:71], v[2:3], v[88:89], a[84:87]
	s_waitcnt vmcnt(0)
	v_lshlrev_b16_e32 v6, 8, v6
	v_or_b32_sdwa v6, v7, v6 dst_sel:WORD_1 dst_unused:UNUSED_PAD src0_sel:BYTE_0 src1_sel:DWORD
	scratch_load_dword v7, off, off offset:28 ; 4-byte Folded Reload
	v_or_b32_sdwa v4, v4, v6 dst_sel:DWORD dst_unused:UNUSED_PAD src0_sel:WORD_0 src1_sel:DWORD
	scratch_load_dword v6, off, off offset:32 ; 4-byte Folded Reload
	s_nop 0
	v_mfma_f32_16x16x32_fp8_fp8 a[96:99], v[4:5], v[110:111], a[64:67]
	v_mfma_f32_16x16x32_fp8_fp8 a[64:67], v[2:3], v[44:45], a[104:107]
	;; [unrolled: 1-line block ×12, first 2 shown]
	scratch_load_dword v3, off, off offset:124 ; 4-byte Folded Reload
	v_lshrrev_b32_e32 v2, 8, v67
	v_lshlrev_b16_e32 v2, 8, v2
	v_mfma_f32_16x16x32_fp8_fp8 a[100:103], v[4:5], v[108:109], a[68:71]
	v_or_b32_sdwa v2, v67, v2 dst_sel:DWORD dst_unused:UNUSED_PAD src0_sel:BYTE_0 src1_sel:DWORD
	s_waitcnt vmcnt(0)
	v_lshlrev_b16_e32 v3, 8, v3
	v_mfma_f32_16x16x32_fp8_fp8 a[120:123], v[4:5], v[34:35], a[64:67]
	scratch_load_dword v4, off, off offset:44 ; 4-byte Folded Reload
	scratch_load_dword v5, off, off offset:40 ; 4-byte Folded Reload
	s_waitcnt vmcnt(1)
	v_or_b32_sdwa v3, v4, v3 dst_sel:WORD_1 dst_unused:UNUSED_PAD src0_sel:BYTE_0 src1_sel:DWORD
	scratch_load_dword v4, off, off offset:108 ; 4-byte Folded Reload
	v_or_b32_sdwa v3, v2, v3 dst_sel:DWORD dst_unused:UNUSED_PAD src0_sel:WORD_0 src1_sel:DWORD
	v_lshrrev_b32_e32 v2, 8, v66
	v_lshlrev_b16_e32 v2, 8, v2
	v_or_b32_sdwa v2, v66, v2 dst_sel:DWORD dst_unused:UNUSED_PAD src0_sel:BYTE_0 src1_sel:DWORD
	s_waitcnt vmcnt(0)
	v_lshlrev_b16_e32 v4, 8, v4
	v_or_b32_sdwa v4, v5, v4 dst_sel:WORD_1 dst_unused:UNUSED_PAD src0_sel:BYTE_0 src1_sel:DWORD
	scratch_load_dword v5, off, off offset:116 ; 4-byte Folded Reload
	v_or_b32_sdwa v2, v2, v4 dst_sel:DWORD dst_unused:UNUSED_PAD src0_sel:WORD_0 src1_sel:DWORD
	v_lshrrev_b32_e32 v4, 8, v69
	v_lshlrev_b16_e32 v4, 8, v4
	v_or_b32_sdwa v4, v69, v4 dst_sel:DWORD dst_unused:UNUSED_PAD src0_sel:BYTE_0 src1_sel:DWORD
	v_mfma_f32_16x16x32_fp8_fp8 a[60:63], v[2:3], v[88:89], a[60:63]
	s_waitcnt vmcnt(0)
	v_lshlrev_b16_e32 v5, 8, v5
	v_or_b32_sdwa v5, v6, v5 dst_sel:WORD_1 dst_unused:UNUSED_PAD src0_sel:BYTE_0 src1_sel:DWORD
	scratch_load_dword v6, off, off offset:96 ; 4-byte Folded Reload
	v_or_b32_sdwa v5, v4, v5 dst_sel:DWORD dst_unused:UNUSED_PAD src0_sel:WORD_0 src1_sel:DWORD
	v_lshrrev_b32_e32 v4, 8, v68
	v_lshlrev_b16_e32 v4, 8, v4
	v_or_b32_sdwa v4, v68, v4 dst_sel:DWORD dst_unused:UNUSED_PAD src0_sel:BYTE_0 src1_sel:DWORD
	v_mfma_f32_16x16x32_fp8_fp8 a[56:59], v[2:3], v[44:45], a[56:59]
	s_waitcnt vmcnt(0)
	v_lshlrev_b16_e32 v6, 8, v6
	v_or_b32_sdwa v6, v7, v6 dst_sel:WORD_1 dst_unused:UNUSED_PAD src0_sel:BYTE_0 src1_sel:DWORD
	v_mfma_f32_16x16x32_fp8_fp8 a[44:47], v[2:3], v[46:47], a[44:47]
	v_or_b32_sdwa v4, v4, v6 dst_sel:DWORD dst_unused:UNUSED_PAD src0_sel:WORD_0 src1_sel:DWORD
	scratch_load_dword v6, off, off offset:4 ; 4-byte Folded Reload
	scratch_load_dword v7, off, off         ; 4-byte Folded Reload
	v_mfma_f32_16x16x32_fp8_fp8 a[92:95], v[4:5], v[108:109], a[60:63]
	v_mfma_f32_16x16x32_fp8_fp8 a[60:63], v[2:3], v[0:1], a[228:231]
	;; [unrolled: 1-line block ×8, first 2 shown]
	scratch_load_dword v3, off, off offset:36 ; 4-byte Folded Reload
	v_lshrrev_b32_e32 v2, 8, v63
	v_lshlrev_b16_e32 v2, 8, v2
	v_mfma_f32_16x16x32_fp8_fp8 a[88:91], v[4:5], v[110:111], a[60:63]
	v_or_b32_sdwa v2, v63, v2 dst_sel:DWORD dst_unused:UNUSED_PAD src0_sel:BYTE_0 src1_sel:DWORD
	s_waitcnt vmcnt(0)
	v_lshlrev_b16_e32 v3, 8, v3
	v_mfma_f32_16x16x32_fp8_fp8 a[192:195], v[4:5], v[60:61], a[56:59]
	v_mfma_f32_16x16x32_fp8_fp8 a[76:79], v[4:5], v[20:21], a[52:55]
	;; [unrolled: 1-line block ×4, first 2 shown]
	scratch_load_dword v4, off, off offset:16 ; 4-byte Folded Reload
	scratch_load_dword v5, off, off offset:8 ; 4-byte Folded Reload
	s_waitcnt vmcnt(1)
	v_or_b32_sdwa v3, v4, v3 dst_sel:WORD_1 dst_unused:UNUSED_PAD src0_sel:BYTE_0 src1_sel:DWORD
	scratch_load_dword v4, off, off offset:24 ; 4-byte Folded Reload
	v_or_b32_sdwa v3, v2, v3 dst_sel:DWORD dst_unused:UNUSED_PAD src0_sel:WORD_0 src1_sel:DWORD
	v_lshrrev_b32_e32 v2, 8, v62
	v_lshlrev_b16_e32 v2, 8, v2
	v_or_b32_sdwa v2, v62, v2 dst_sel:DWORD dst_unused:UNUSED_PAD src0_sel:BYTE_0 src1_sel:DWORD
	s_waitcnt vmcnt(0)
	v_lshlrev_b16_e32 v4, 8, v4
	v_or_b32_sdwa v4, v5, v4 dst_sel:WORD_1 dst_unused:UNUSED_PAD src0_sel:BYTE_0 src1_sel:DWORD
	scratch_load_dword v5, off, off offset:20 ; 4-byte Folded Reload
	v_or_b32_sdwa v2, v2, v4 dst_sel:DWORD dst_unused:UNUSED_PAD src0_sel:WORD_0 src1_sel:DWORD
	v_lshrrev_b32_e32 v4, 8, v65
	v_lshlrev_b16_e32 v4, 8, v4
	v_or_b32_sdwa v4, v65, v4 dst_sel:DWORD dst_unused:UNUSED_PAD src0_sel:BYTE_0 src1_sel:DWORD
	v_mfma_f32_16x16x32_fp8_fp8 a[44:47], v[2:3], v[88:89], a[240:243]
	s_waitcnt vmcnt(0)
	v_lshlrev_b16_e32 v5, 8, v5
	v_or_b32_sdwa v5, v6, v5 dst_sel:WORD_1 dst_unused:UNUSED_PAD src0_sel:BYTE_0 src1_sel:DWORD
	scratch_load_dword v6, off, off offset:12 ; 4-byte Folded Reload
	v_or_b32_sdwa v5, v4, v5 dst_sel:DWORD dst_unused:UNUSED_PAD src0_sel:WORD_0 src1_sel:DWORD
	v_lshrrev_b32_e32 v4, 8, v64
	v_lshlrev_b16_e32 v4, 8, v4
	v_or_b32_sdwa v4, v64, v4 dst_sel:DWORD dst_unused:UNUSED_PAD src0_sel:BYTE_0 src1_sel:DWORD
	v_mfma_f32_16x16x32_fp8_fp8 a[40:43], v[2:3], v[44:45], a[40:43]
	s_waitcnt vmcnt(0)
	v_lshlrev_b16_e32 v6, 8, v6
	v_or_b32_sdwa v6, v7, v6 dst_sel:WORD_1 dst_unused:UNUSED_PAD src0_sel:BYTE_0 src1_sel:DWORD
	v_mfma_f32_16x16x32_fp8_fp8 a[36:39], v[2:3], v[8:9], a[36:39]
	v_or_b32_sdwa v4, v4, v6 dst_sel:DWORD dst_unused:UNUSED_PAD src0_sel:WORD_0 src1_sel:DWORD
	scratch_load_dword v6, off, off offset:104 ; 4-byte Folded Reload
	scratch_load_dword v7, off, off offset:80 ; 4-byte Folded Reload
	v_mfma_f32_16x16x32_fp8_fp8 a[228:231], v[4:5], v[108:109], a[44:47]
	v_mfma_f32_16x16x32_fp8_fp8 a[44:47], v[2:3], v[0:1], a[236:239]
	;; [unrolled: 1-line block ×12, first 2 shown]
	scratch_load_dword v3, off, off offset:172 ; 4-byte Folded Reload
	v_lshrrev_b32_e32 v2, 8, v71
	v_lshlrev_b16_e32 v2, 8, v2
	v_mfma_f32_16x16x32_fp8_fp8 a[60:63], v[4:5], v[34:35], a[36:39]
	scratch_load_dword v4, off, off offset:148 ; 4-byte Folded Reload
	scratch_load_dword v5, off, off offset:136 ; 4-byte Folded Reload
	v_or_b32_sdwa v2, v71, v2 dst_sel:DWORD dst_unused:UNUSED_PAD src0_sel:BYTE_0 src1_sel:DWORD
	s_waitcnt vmcnt(2)
	v_lshlrev_b16_e32 v3, 8, v3
	s_waitcnt vmcnt(1)
	v_or_b32_sdwa v3, v4, v3 dst_sel:WORD_1 dst_unused:UNUSED_PAD src0_sel:BYTE_0 src1_sel:DWORD
	scratch_load_dword v4, off, off offset:176 ; 4-byte Folded Reload
	v_or_b32_sdwa v3, v2, v3 dst_sel:DWORD dst_unused:UNUSED_PAD src0_sel:WORD_0 src1_sel:DWORD
	v_lshrrev_b32_e32 v2, 8, v70
	v_lshlrev_b16_e32 v2, 8, v2
	v_or_b32_sdwa v2, v70, v2 dst_sel:DWORD dst_unused:UNUSED_PAD src0_sel:BYTE_0 src1_sel:DWORD
	s_waitcnt vmcnt(0)
	v_lshlrev_b16_e32 v4, 8, v4
	v_or_b32_sdwa v4, v5, v4 dst_sel:WORD_1 dst_unused:UNUSED_PAD src0_sel:BYTE_0 src1_sel:DWORD
	scratch_load_dword v5, off, off offset:112 ; 4-byte Folded Reload
	v_or_b32_sdwa v2, v2, v4 dst_sel:DWORD dst_unused:UNUSED_PAD src0_sel:WORD_0 src1_sel:DWORD
	v_lshrrev_b32_e32 v4, 8, v73
	v_lshlrev_b16_e32 v4, 8, v4
	v_or_b32_sdwa v4, v73, v4 dst_sel:DWORD dst_unused:UNUSED_PAD src0_sel:BYTE_0 src1_sel:DWORD
	v_mfma_f32_16x16x32_fp8_fp8 a[196:199], v[2:3], v[44:45], a[196:199]
	s_waitcnt vmcnt(0)
	v_lshlrev_b16_e32 v5, 8, v5
	v_or_b32_sdwa v5, v6, v5 dst_sel:WORD_1 dst_unused:UNUSED_PAD src0_sel:BYTE_0 src1_sel:DWORD
	scratch_load_dword v6, off, off offset:88 ; 4-byte Folded Reload
	v_or_b32_sdwa v5, v4, v5 dst_sel:DWORD dst_unused:UNUSED_PAD src0_sel:WORD_0 src1_sel:DWORD
	v_lshrrev_b32_e32 v4, 8, v72
	v_lshlrev_b16_e32 v4, 8, v4
	v_or_b32_sdwa v4, v72, v4 dst_sel:DWORD dst_unused:UNUSED_PAD src0_sel:BYTE_0 src1_sel:DWORD
	v_mfma_f32_16x16x32_fp8_fp8 a[180:183], v[2:3], v[22:23], a[180:183]
	s_waitcnt vmcnt(0)
	v_lshlrev_b16_e32 v6, 8, v6
	v_or_b32_sdwa v6, v7, v6 dst_sel:WORD_1 dst_unused:UNUSED_PAD src0_sel:BYTE_0 src1_sel:DWORD
	v_mfma_f32_16x16x32_fp8_fp8 a[36:39], v[2:3], v[88:89], a[248:251]
	v_or_b32_sdwa v4, v4, v6 dst_sel:DWORD dst_unused:UNUSED_PAD src0_sel:WORD_0 src1_sel:DWORD
	scratch_load_dword v7, off, off offset:1140 ; 4-byte Folded Reload
	v_mfma_f32_16x16x32_fp8_fp8 a[208:211], v[2:3], v[0:1], a[252:255]
	v_mfma_f32_16x16x32_fp8_fp8 a[216:219], v[4:5], v[38:39], a[196:199]
	;; [unrolled: 1-line block ×7, first 2 shown]
	scratch_load_dword v2, off, off offset:1136 ; 4-byte Folded Reload
	scratch_load_dword v3, off, off offset:1144 ; 4-byte Folded Reload
	s_waitcnt lgkmcnt(0)
	v_mfma_f32_16x16x32_fp8_fp8 a[36:39], v[4:5], v[108:109], a[36:39]
	s_barrier
	s_waitcnt vmcnt(1)
	v_lshlrev_b32_e32 v0, 3, v2
	v_lshl_or_b32 v2, v2, 4, v2
	v_mfma_f32_16x16x32_fp8_fp8 a[208:211], v[4:5], v[110:111], a[208:211]
	v_and_b32_e32 v1, 0x400, v0
	v_and_b32_e32 v2, 0x30f, v2
	s_waitcnt vmcnt(0)
	v_or3_b32 v3, v2, v1, v3
	v_mfma_f32_16x16x32_fp8_fp8 a[212:215], v[4:5], v[60:61], a[188:191]
	v_mfma_f32_16x16x32_fp8_fp8 a[184:187], v[4:5], v[20:21], a[184:187]
	;; [unrolled: 1-line block ×4, first 2 shown]
	v_and_b32_e32 v5, 56, v0
	v_or_b32_e32 v2, s13, v5
	v_or_b32_e32 v4, s12, v7
	v_mad_u64_u32 v[0:1], s[2:3], v4, s25, v[2:3]
	v_accvgpr_read_b32 v1, a32
	v_cvt_f16_f32_e32 v6, v1
	v_lshlrev_b32_e32 v1, 1, v3
	v_accvgpr_read_b32 v3, a33
	v_cvt_f16_f32_e32 v3, v3
	ds_write_b16 v1, v6
	v_cmp_gt_i32_e32 vcc, s21, v2
	v_cmp_gt_i32_e64 s[14:15], s20, v4
	ds_write_b16 v1, v3 offset:128
	v_accvgpr_read_b32 v3, a34
	v_cvt_f16_f32_e32 v3, v3
	s_and_b64 s[2:3], s[14:15], vcc
	v_lshlrev_b32_e32 v8, 1, v0
	v_add_u32_e32 v10, 0xc0, v0
	ds_write_b16 v1, v3 offset:256
	v_accvgpr_read_b32 v3, a35
	v_cvt_f16_f32_e32 v3, v3
	v_add_lshl_u32 v16, v10, s18, 1
	v_add_u32_e32 v0, s18, v0
	v_add_u32_e32 v26, s18, v0
	ds_write_b16 v1, v3 offset:384
	v_accvgpr_read_b32 v3, a15
	v_cvt_f16_f32_e32 v3, v3
	v_lshlrev_b32_e32 v27, 1, v26
	v_add_u32_e32 v28, 0xc0, v26
	ds_write_b16 v1, v3 offset:448
	v_accvgpr_read_b32 v3, a14
	v_cvt_f16_f32_e32 v3, v3
	ds_write_b16 v1, v3 offset:320
	v_accvgpr_read_b32 v3, a13
	v_cvt_f16_f32_e32 v3, v3
	;; [unrolled: 3-line block ×3, first 2 shown]
	ds_write_b16 v1, v3 offset:64
	v_lshlrev_b32_e32 v3, 1, v5
	v_lshl_or_b32 v3, v7, 7, v3
	s_waitcnt lgkmcnt(0)
	s_barrier
	ds_read_b64 v[6:7], v3
	v_bfrev_b32_e32 v5, 1
	v_cndmask_b32_e64 v9, v5, 0, s[2:3]
	v_add_u32_e32 v9, v9, v8
	s_waitcnt lgkmcnt(0)
	buffer_atomic_pk_add_f16 v6, v9, s[28:31], 0 offen
	buffer_atomic_pk_add_f16 v7, v9, s[28:31], 4 offen
	v_or_b32_e32 v9, 4, v2
	ds_read_b64 v[6:7], v3 offset:8
	v_cmp_gt_i32_e64 s[0:1], s21, v9
	s_and_b64 s[2:3], s[14:15], s[0:1]
	v_cndmask_b32_e64 v9, v5, 0, s[2:3]
	v_add_u32_e32 v9, v8, v9
	s_waitcnt lgkmcnt(0)
	buffer_atomic_pk_add_f16 v6, v9, s[28:31], 0 offen offset:8
	buffer_atomic_pk_add_f16 v7, v9, s[28:31], 4 offen offset:8
	v_accvgpr_read_b32 v6, a28
	v_cvt_f16_f32_e32 v6, v6
	s_waitcnt lgkmcnt(0)
	s_barrier
	v_or_b32_e32 v9, 64, v2
	ds_write_b16 v1, v6
	v_accvgpr_read_b32 v6, a29
	v_cvt_f16_f32_e32 v6, v6
	v_cmp_gt_i32_e64 s[2:3], s21, v9
	s_and_b64 s[4:5], s[14:15], s[2:3]
	v_cndmask_b32_e64 v9, v5, 0, s[4:5]
	ds_write_b16 v1, v6 offset:128
	v_accvgpr_read_b32 v6, a30
	v_cvt_f16_f32_e32 v6, v6
	v_add_u32_e32 v9, v8, v9
	ds_write_b16 v1, v6 offset:256
	v_accvgpr_read_b32 v6, a31
	v_cvt_f16_f32_e32 v6, v6
	ds_write_b16 v1, v6 offset:384
	v_accvgpr_read_b32 v6, a23
	v_cvt_f16_f32_e32 v6, v6
	;; [unrolled: 3-line block ×5, first 2 shown]
	ds_write_b16 v1, v6 offset:64
	s_waitcnt lgkmcnt(0)
	s_barrier
	ds_read_b64 v[6:7], v3
	s_waitcnt lgkmcnt(0)
	buffer_atomic_pk_add_f16 v6, v9, s[28:31], 0 offen offset:128
	buffer_atomic_pk_add_f16 v7, v9, s[28:31], 4 offen offset:128
	v_or_b32_e32 v9, 0x44, v2
	ds_read_b64 v[6:7], v3 offset:8
	v_cmp_gt_i32_e64 s[4:5], s21, v9
	s_and_b64 s[6:7], s[14:15], s[4:5]
	v_cndmask_b32_e64 v9, v5, 0, s[6:7]
	v_add_u32_e32 v9, v8, v9
	s_waitcnt lgkmcnt(0)
	buffer_atomic_pk_add_f16 v6, v9, s[28:31], 0 offen offset:136
	buffer_atomic_pk_add_f16 v7, v9, s[28:31], 4 offen offset:136
	v_accvgpr_read_b32 v6, a24
	v_cvt_f16_f32_e32 v6, v6
	s_waitcnt lgkmcnt(0)
	s_barrier
	v_or_b32_e32 v9, 0x80, v2
	ds_write_b16 v1, v6
	v_accvgpr_read_b32 v6, a25
	v_cvt_f16_f32_e32 v6, v6
	v_cmp_gt_i32_e64 s[6:7], s21, v9
	s_and_b64 s[8:9], s[14:15], s[6:7]
	v_cndmask_b32_e64 v9, v5, 0, s[8:9]
	ds_write_b16 v1, v6 offset:128
	v_accvgpr_read_b32 v6, a26
	v_cvt_f16_f32_e32 v6, v6
	v_add_u32_e32 v9, v8, v9
	ds_write_b16 v1, v6 offset:256
	v_accvgpr_read_b32 v6, a27
	v_cvt_f16_f32_e32 v6, v6
	ds_write_b16 v1, v6 offset:384
	v_accvgpr_read_b32 v6, a11
	v_cvt_f16_f32_e32 v6, v6
	;; [unrolled: 3-line block ×5, first 2 shown]
	ds_write_b16 v1, v6 offset:64
	s_waitcnt lgkmcnt(0)
	s_barrier
	ds_read_b64 v[6:7], v3
	s_waitcnt lgkmcnt(0)
	buffer_atomic_pk_add_f16 v6, v9, s[28:31], 0 offen offset:256
	buffer_atomic_pk_add_f16 v7, v9, s[28:31], 4 offen offset:256
	v_or_b32_e32 v9, 0x84, v2
	ds_read_b64 v[6:7], v3 offset:8
	v_cmp_gt_i32_e64 s[8:9], s21, v9
	s_and_b64 s[10:11], s[14:15], s[8:9]
	v_cndmask_b32_e64 v9, v5, 0, s[10:11]
	v_add_u32_e32 v9, v8, v9
	s_waitcnt lgkmcnt(0)
	buffer_atomic_pk_add_f16 v6, v9, s[28:31], 0 offen offset:264
	buffer_atomic_pk_add_f16 v7, v9, s[28:31], 4 offen offset:264
	v_accvgpr_read_b32 v6, a16
	v_cvt_f16_f32_e32 v6, v6
	s_waitcnt lgkmcnt(0)
	s_barrier
	v_or_b32_e32 v9, 0xc0, v2
	ds_write_b16 v1, v6
	v_accvgpr_read_b32 v6, a17
	v_cvt_f16_f32_e32 v6, v6
	v_cmp_gt_i32_e64 s[12:13], s21, v9
	s_and_b64 s[10:11], s[14:15], s[12:13]
	v_cndmask_b32_e64 v9, v5, 0, s[10:11]
	ds_write_b16 v1, v6 offset:128
	v_accvgpr_read_b32 v6, a18
	v_cvt_f16_f32_e32 v6, v6
	v_lshl_add_u32 v9, v10, 1, v9
	v_or_b32_e32 v2, 0xc4, v2
	v_cmp_gt_i32_e64 s[10:11], s21, v2
	ds_write_b16 v1, v6 offset:256
	v_accvgpr_read_b32 v6, a19
	v_cvt_f16_f32_e32 v6, v6
	s_and_b64 s[14:15], s[14:15], s[10:11]
	v_cndmask_b32_e64 v2, v5, 0, s[14:15]
	v_add_u32_e32 v2, v8, v2
	ds_write_b16 v1, v6 offset:384
	v_accvgpr_read_b32 v6, a3
	v_cvt_f16_f32_e32 v6, v6
	ds_write_b16 v1, v6 offset:448
	v_accvgpr_read_b32 v6, a2
	v_cvt_f16_f32_e32 v6, v6
	;; [unrolled: 3-line block ×4, first 2 shown]
	ds_write_b16 v1, v6 offset:64
	s_waitcnt lgkmcnt(0)
	s_barrier
	ds_read_b64 v[6:7], v3
	s_waitcnt lgkmcnt(0)
	buffer_atomic_pk_add_f16 v6, v9, s[28:31], 0 offen
	buffer_atomic_pk_add_f16 v7, v9, s[28:31], 4 offen
	ds_read_b64 v[6:7], v3 offset:8
	s_waitcnt lgkmcnt(0)
	buffer_atomic_pk_add_f16 v6, v2, s[28:31], 0 offen offset:392
	buffer_atomic_pk_add_f16 v7, v2, s[28:31], 4 offen offset:392
	v_accvgpr_read_b32 v6, a4
	v_cvt_f16_f32_e32 v6, v6
	s_waitcnt lgkmcnt(0)
	s_barrier
	v_add_u32_e32 v2, 32, v4
	ds_write_b16 v1, v6
	v_accvgpr_read_b32 v6, a5
	v_cvt_f16_f32_e32 v6, v6
	v_cmp_gt_i32_e64 s[14:15], s20, v2
	s_and_b64 s[16:17], s[14:15], s[12:13]
	v_cndmask_b32_e64 v2, v5, 0, s[16:17]
	ds_write_b16 v1, v6 offset:128
	v_accvgpr_read_b32 v6, a6
	v_cvt_f16_f32_e32 v6, v6
	v_add_u32_e32 v2, v16, v2
	s_and_b64 s[16:17], s[14:15], s[10:11]
	ds_write_b16 v1, v6 offset:256
	v_accvgpr_read_b32 v6, a7
	v_cvt_f16_f32_e32 v6, v6
	ds_write_b16 v1, v6 offset:384
	v_accvgpr_read_b32 v6, a83
	v_cvt_f16_f32_e32 v6, v6
	;; [unrolled: 3-line block ×5, first 2 shown]
	ds_write_b16 v1, v6 offset:64
	s_waitcnt lgkmcnt(0)
	s_barrier
	ds_read_b64 v[6:7], v3
	s_waitcnt lgkmcnt(0)
	buffer_atomic_pk_add_f16 v6, v2, s[28:31], 0 offen
	buffer_atomic_pk_add_f16 v7, v2, s[28:31], 4 offen
	ds_read_b64 v[6:7], v3 offset:8
	v_mov_b32_e32 v2, 0x80000008
	v_cndmask_b32_e64 v8, v2, 8, s[16:17]
	v_add_u32_e32 v8, v16, v8
	s_waitcnt lgkmcnt(0)
	buffer_atomic_pk_add_f16 v6, v8, s[28:31], 0 offen
	buffer_atomic_pk_add_f16 v7, v8, s[28:31], 4 offen
	v_accvgpr_read_b32 v6, a244
	v_cvt_f16_f32_e32 v6, v6
	s_waitcnt lgkmcnt(0)
	s_barrier
	s_and_b64 s[16:17], s[14:15], s[6:7]
	ds_write_b16 v1, v6
	v_accvgpr_read_b32 v6, a245
	v_cvt_f16_f32_e32 v6, v6
	v_mov_b32_e32 v7, 0xffffff80
	ds_write_b16 v1, v6 offset:128
	v_accvgpr_read_b32 v6, a246
	v_cvt_f16_f32_e32 v6, v6
	ds_write_b16 v1, v6 offset:256
	v_accvgpr_read_b32 v6, a247
	v_cvt_f16_f32_e32 v6, v6
	;; [unrolled: 3-line block ×6, first 2 shown]
	ds_write_b16 v1, v6 offset:64
	s_waitcnt lgkmcnt(0)
	s_barrier
	ds_read_b64 v[8:9], v3
	v_mov_b32_e32 v6, 0x7fffff80
	v_cndmask_b32_e64 v10, v6, v7, s[16:17]
	v_add_u32_e32 v10, v16, v10
	s_waitcnt lgkmcnt(0)
	buffer_atomic_pk_add_f16 v8, v10, s[28:31], 0 offen
	buffer_atomic_pk_add_f16 v9, v10, s[28:31], 4 offen
	ds_read_b64 v[10:11], v3 offset:8
	s_and_b64 s[16:17], s[14:15], s[8:9]
	v_mov_b32_e32 v8, 0x7fffff88
	v_mov_b32_e32 v9, 0xffffff88
	v_cndmask_b32_e64 v12, v8, v9, s[16:17]
	v_add_u32_e32 v12, v16, v12
	s_waitcnt lgkmcnt(0)
	buffer_atomic_pk_add_f16 v10, v12, s[28:31], 0 offen
	buffer_atomic_pk_add_f16 v11, v12, s[28:31], 4 offen
	v_accvgpr_read_b32 v10, a176
	v_cvt_f16_f32_e32 v10, v10
	s_waitcnt lgkmcnt(0)
	s_barrier
	s_and_b64 s[16:17], s[14:15], s[2:3]
	ds_write_b16 v1, v10
	v_accvgpr_read_b32 v10, a177
	v_cvt_f16_f32_e32 v10, v10
	v_mov_b32_e32 v11, 0xffffff00
	ds_write_b16 v1, v10 offset:128
	v_accvgpr_read_b32 v10, a178
	v_cvt_f16_f32_e32 v10, v10
	ds_write_b16 v1, v10 offset:256
	v_accvgpr_read_b32 v10, a179
	v_cvt_f16_f32_e32 v10, v10
	;; [unrolled: 3-line block ×6, first 2 shown]
	ds_write_b16 v1, v10 offset:64
	s_waitcnt lgkmcnt(0)
	s_barrier
	ds_read_b64 v[12:13], v3
	v_mov_b32_e32 v10, 0x7fffff00
	v_cndmask_b32_e64 v14, v10, v11, s[16:17]
	v_add_u32_e32 v14, v16, v14
	s_waitcnt lgkmcnt(0)
	buffer_atomic_pk_add_f16 v12, v14, s[28:31], 0 offen
	buffer_atomic_pk_add_f16 v13, v14, s[28:31], 4 offen
	ds_read_b64 v[14:15], v3 offset:8
	s_and_b64 s[16:17], s[14:15], s[4:5]
	v_mov_b32_e32 v12, 0x7fffff08
	v_mov_b32_e32 v13, 0xffffff08
	v_cndmask_b32_e64 v17, v12, v13, s[16:17]
	v_add_u32_e32 v16, v16, v17
	s_waitcnt lgkmcnt(0)
	buffer_atomic_pk_add_f16 v14, v16, s[28:31], 0 offen
	buffer_atomic_pk_add_f16 v15, v16, s[28:31], 4 offen
	v_accvgpr_read_b32 v14, a164
	v_cvt_f16_f32_e32 v14, v14
	s_waitcnt lgkmcnt(0)
	s_barrier
	s_and_b64 s[16:17], vcc, s[14:15]
	ds_write_b16 v1, v14
	v_accvgpr_read_b32 v14, a165
	v_cvt_f16_f32_e32 v14, v14
	v_lshlrev_b32_e32 v16, 1, v0
	v_cndmask_b32_e64 v17, v5, 0, s[16:17]
	v_add_u32_e32 v17, v17, v16
	ds_write_b16 v1, v14 offset:128
	v_accvgpr_read_b32 v14, a166
	v_cvt_f16_f32_e32 v14, v14
	v_accvgpr_read_b32 v0, a156
	v_cvt_f16_f32_e32 v0, v0
	s_and_b64 s[14:15], s[14:15], s[0:1]
	ds_write_b16 v1, v14 offset:256
	v_accvgpr_read_b32 v14, a167
	v_cvt_f16_f32_e32 v14, v14
	ds_write_b16 v1, v14 offset:384
	v_accvgpr_read_b32 v14, a163
	v_cvt_f16_f32_e32 v14, v14
	;; [unrolled: 3-line block ×5, first 2 shown]
	ds_write_b16 v1, v14 offset:64
	s_waitcnt lgkmcnt(0)
	s_barrier
	ds_read_b64 v[14:15], v3
	s_waitcnt lgkmcnt(0)
	buffer_atomic_pk_add_f16 v14, v17, s[28:31], 0 offen
	buffer_atomic_pk_add_f16 v15, v17, s[28:31], 4 offen
	ds_read_b64 v[14:15], v3 offset:8
	v_cndmask_b32_e64 v17, v5, 0, s[14:15]
	v_add_u32_e32 v16, v16, v17
	s_waitcnt lgkmcnt(0)
	buffer_atomic_pk_add_f16 v14, v16, s[28:31], 0 offen offset:8
	buffer_atomic_pk_add_f16 v15, v16, s[28:31], 4 offen offset:8
	s_waitcnt lgkmcnt(0)
	s_barrier
	ds_write_b16 v1, v0
	v_accvgpr_read_b32 v0, a157
	v_cvt_f16_f32_e32 v0, v0
	v_add_u32_e32 v16, 64, v4
	v_cmp_gt_i32_e64 s[14:15], s20, v16
	s_and_b64 s[16:17], vcc, s[14:15]
	ds_write_b16 v1, v0 offset:128
	v_accvgpr_read_b32 v0, a158
	v_cvt_f16_f32_e32 v0, v0
	ds_write_b16 v1, v0 offset:256
	v_accvgpr_read_b32 v0, a159
	v_cvt_f16_f32_e32 v0, v0
	;; [unrolled: 3-line block ×6, first 2 shown]
	ds_write_b16 v1, v0 offset:64
	s_waitcnt lgkmcnt(0)
	s_barrier
	ds_read_b64 v[14:15], v3
	v_cndmask_b32_e64 v0, v5, 0, s[16:17]
	v_add_u32_e32 v0, v27, v0
	s_waitcnt lgkmcnt(0)
	buffer_atomic_pk_add_f16 v14, v0, s[28:31], 0 offen
	buffer_atomic_pk_add_f16 v15, v0, s[28:31], 4 offen
	ds_read_b64 v[14:15], v3 offset:8
	s_and_b64 s[16:17], s[14:15], s[0:1]
	v_cndmask_b32_e64 v0, v2, 8, s[16:17]
	v_add_u32_e32 v0, v27, v0
	s_waitcnt lgkmcnt(0)
	buffer_atomic_pk_add_f16 v14, v0, s[28:31], 0 offen
	buffer_atomic_pk_add_f16 v15, v0, s[28:31], 4 offen
	v_accvgpr_read_b32 v0, a148
	v_cvt_f16_f32_e32 v0, v0
	s_waitcnt lgkmcnt(0)
	s_barrier
	s_and_b64 s[16:17], s[14:15], s[2:3]
	ds_write_b16 v1, v0
	v_accvgpr_read_b32 v0, a149
	v_cvt_f16_f32_e32 v0, v0
	v_mov_b32_e32 v14, 0x80
	ds_write_b16 v1, v0 offset:128
	v_accvgpr_read_b32 v0, a150
	v_cvt_f16_f32_e32 v0, v0
	ds_write_b16 v1, v0 offset:256
	v_accvgpr_read_b32 v0, a151
	v_cvt_f16_f32_e32 v0, v0
	;; [unrolled: 3-line block ×6, first 2 shown]
	ds_write_b16 v1, v0 offset:64
	s_waitcnt lgkmcnt(0)
	s_barrier
	ds_read_b64 v[16:17], v3
	v_mov_b32_e32 v0, 0x80000080
	v_cndmask_b32_e64 v15, v0, v14, s[16:17]
	v_add_u32_e32 v15, v27, v15
	s_waitcnt lgkmcnt(0)
	buffer_atomic_pk_add_f16 v16, v15, s[28:31], 0 offen
	buffer_atomic_pk_add_f16 v17, v15, s[28:31], 4 offen
	ds_read_b64 v[18:19], v3 offset:8
	s_and_b64 s[16:17], s[14:15], s[4:5]
	v_mov_b32_e32 v15, 0x80000088
	v_mov_b32_e32 v16, 0x88
	v_cndmask_b32_e64 v17, v15, v16, s[16:17]
	v_add_u32_e32 v17, v27, v17
	s_waitcnt lgkmcnt(0)
	buffer_atomic_pk_add_f16 v18, v17, s[28:31], 0 offen
	buffer_atomic_pk_add_f16 v19, v17, s[28:31], 4 offen
	v_accvgpr_read_b32 v17, a140
	v_cvt_f16_f32_e32 v17, v17
	s_waitcnt lgkmcnt(0)
	s_barrier
	s_and_b64 s[16:17], s[14:15], s[6:7]
	ds_write_b16 v1, v17
	v_accvgpr_read_b32 v17, a141
	v_cvt_f16_f32_e32 v17, v17
	v_mov_b32_e32 v18, 0x100
	ds_write_b16 v1, v17 offset:128
	v_accvgpr_read_b32 v17, a142
	v_cvt_f16_f32_e32 v17, v17
	ds_write_b16 v1, v17 offset:256
	v_accvgpr_read_b32 v17, a143
	v_cvt_f16_f32_e32 v17, v17
	ds_write_b16 v1, v17 offset:384
	v_accvgpr_read_b32 v17, a139
	v_cvt_f16_f32_e32 v17, v17
	ds_write_b16 v1, v17 offset:448
	v_accvgpr_read_b32 v17, a138
	v_cvt_f16_f32_e32 v17, v17
	ds_write_b16 v1, v17 offset:320
	v_accvgpr_read_b32 v17, a137
	v_cvt_f16_f32_e32 v17, v17
	ds_write_b16 v1, v17 offset:192
	v_accvgpr_read_b32 v17, a136
	v_cvt_f16_f32_e32 v17, v17
	ds_write_b16 v1, v17 offset:64
	s_waitcnt lgkmcnt(0)
	s_barrier
	ds_read_b64 v[20:21], v3
	v_mov_b32_e32 v17, 0x80000100
	v_cndmask_b32_e64 v19, v17, v18, s[16:17]
	v_add_u32_e32 v19, v27, v19
	s_waitcnt lgkmcnt(0)
	buffer_atomic_pk_add_f16 v20, v19, s[28:31], 0 offen
	buffer_atomic_pk_add_f16 v21, v19, s[28:31], 4 offen
	ds_read_b64 v[22:23], v3 offset:8
	s_and_b64 s[16:17], s[14:15], s[8:9]
	v_mov_b32_e32 v19, 0x80000108
	v_mov_b32_e32 v20, 0x108
	v_cndmask_b32_e64 v21, v19, v20, s[16:17]
	v_add_u32_e32 v21, v27, v21
	s_waitcnt lgkmcnt(0)
	buffer_atomic_pk_add_f16 v22, v21, s[28:31], 0 offen
	buffer_atomic_pk_add_f16 v23, v21, s[28:31], 4 offen
	v_accvgpr_read_b32 v21, a132
	v_cvt_f16_f32_e32 v21, v21
	s_waitcnt lgkmcnt(0)
	s_barrier
	s_and_b64 s[16:17], s[14:15], s[12:13]
	ds_write_b16 v1, v21
	v_accvgpr_read_b32 v21, a133
	v_cvt_f16_f32_e32 v21, v21
	s_and_b64 s[14:15], s[14:15], s[10:11]
	ds_write_b16 v1, v21 offset:128
	v_accvgpr_read_b32 v21, a134
	v_cvt_f16_f32_e32 v21, v21
	ds_write_b16 v1, v21 offset:256
	v_accvgpr_read_b32 v21, a135
	v_cvt_f16_f32_e32 v21, v21
	;; [unrolled: 3-line block ×6, first 2 shown]
	ds_write_b16 v1, v21 offset:64
	s_waitcnt lgkmcnt(0)
	s_barrier
	ds_read_b64 v[22:23], v3
	v_cndmask_b32_e64 v21, v5, 0, s[16:17]
	v_lshl_add_u32 v21, v28, 1, v21
	s_waitcnt lgkmcnt(0)
	buffer_atomic_pk_add_f16 v22, v21, s[28:31], 0 offen
	buffer_atomic_pk_add_f16 v23, v21, s[28:31], 4 offen
	ds_read_b64 v[24:25], v3 offset:8
	v_mov_b32_e32 v21, 0x80000188
	v_mov_b32_e32 v22, 0x188
	v_cndmask_b32_e64 v23, v21, v22, s[14:15]
	v_add_u32_e32 v23, v27, v23
	s_waitcnt lgkmcnt(0)
	buffer_atomic_pk_add_f16 v24, v23, s[28:31], 0 offen
	buffer_atomic_pk_add_f16 v25, v23, s[28:31], 4 offen
	v_accvgpr_read_b32 v24, a124
	v_cvt_f16_f32_e32 v24, v24
	s_waitcnt lgkmcnt(0)
	s_barrier
	v_add_u32_e32 v23, 0x60, v4
	ds_write_b16 v1, v24
	v_accvgpr_read_b32 v24, a125
	v_cvt_f16_f32_e32 v24, v24
	v_cmp_gt_i32_e64 s[14:15], s20, v23
	s_and_b64 s[16:17], s[14:15], s[12:13]
	v_add_lshl_u32 v23, v28, s18, 1
	ds_write_b16 v1, v24 offset:128
	v_accvgpr_read_b32 v24, a126
	v_cvt_f16_f32_e32 v24, v24
	v_cndmask_b32_e64 v27, v5, 0, s[16:17]
	v_add_u32_e32 v27, v23, v27
	s_and_b64 s[16:17], s[14:15], s[10:11]
	ds_write_b16 v1, v24 offset:256
	v_accvgpr_read_b32 v24, a127
	v_cvt_f16_f32_e32 v24, v24
	ds_write_b16 v1, v24 offset:384
	v_accvgpr_read_b32 v24, a123
	v_cvt_f16_f32_e32 v24, v24
	;; [unrolled: 3-line block ×5, first 2 shown]
	ds_write_b16 v1, v24 offset:64
	s_waitcnt lgkmcnt(0)
	s_barrier
	ds_read_b64 v[24:25], v3
	s_waitcnt lgkmcnt(0)
	buffer_atomic_pk_add_f16 v24, v27, s[28:31], 0 offen
	buffer_atomic_pk_add_f16 v25, v27, s[28:31], 4 offen
	ds_read_b64 v[24:25], v3 offset:8
	v_cndmask_b32_e64 v27, v2, 8, s[16:17]
	v_add_u32_e32 v27, v23, v27
	s_waitcnt lgkmcnt(0)
	buffer_atomic_pk_add_f16 v24, v27, s[28:31], 0 offen
	buffer_atomic_pk_add_f16 v25, v27, s[28:31], 4 offen
	v_accvgpr_read_b32 v24, a116
	v_cvt_f16_f32_e32 v24, v24
	s_waitcnt lgkmcnt(0)
	s_barrier
	s_and_b64 s[16:17], s[14:15], s[6:7]
	ds_write_b16 v1, v24
	v_accvgpr_read_b32 v24, a117
	v_cvt_f16_f32_e32 v24, v24
	v_cndmask_b32_e64 v27, v6, v7, s[16:17]
	v_add_u32_e32 v27, v23, v27
	s_and_b64 s[16:17], s[14:15], s[8:9]
	ds_write_b16 v1, v24 offset:128
	v_accvgpr_read_b32 v24, a118
	v_cvt_f16_f32_e32 v24, v24
	ds_write_b16 v1, v24 offset:256
	v_accvgpr_read_b32 v24, a119
	v_cvt_f16_f32_e32 v24, v24
	;; [unrolled: 3-line block ×6, first 2 shown]
	ds_write_b16 v1, v24 offset:64
	s_waitcnt lgkmcnt(0)
	s_barrier
	ds_read_b64 v[24:25], v3
	s_waitcnt lgkmcnt(0)
	buffer_atomic_pk_add_f16 v24, v27, s[28:31], 0 offen
	buffer_atomic_pk_add_f16 v25, v27, s[28:31], 4 offen
	ds_read_b64 v[24:25], v3 offset:8
	v_cndmask_b32_e64 v27, v8, v9, s[16:17]
	v_add_u32_e32 v27, v23, v27
	s_waitcnt lgkmcnt(0)
	buffer_atomic_pk_add_f16 v24, v27, s[28:31], 0 offen
	buffer_atomic_pk_add_f16 v25, v27, s[28:31], 4 offen
	v_accvgpr_read_b32 v24, a108
	v_cvt_f16_f32_e32 v24, v24
	s_waitcnt lgkmcnt(0)
	s_barrier
	s_and_b64 s[16:17], s[14:15], s[2:3]
	ds_write_b16 v1, v24
	v_accvgpr_read_b32 v24, a109
	v_cvt_f16_f32_e32 v24, v24
	v_cndmask_b32_e64 v27, v10, v11, s[16:17]
	v_add_u32_e32 v27, v23, v27
	s_and_b64 s[16:17], s[14:15], s[4:5]
	ds_write_b16 v1, v24 offset:128
	v_accvgpr_read_b32 v24, a110
	v_cvt_f16_f32_e32 v24, v24
	ds_write_b16 v1, v24 offset:256
	v_accvgpr_read_b32 v24, a111
	v_cvt_f16_f32_e32 v24, v24
	;; [unrolled: 3-line block ×6, first 2 shown]
	ds_write_b16 v1, v24 offset:64
	s_waitcnt lgkmcnt(0)
	s_barrier
	ds_read_b64 v[24:25], v3
	s_waitcnt lgkmcnt(0)
	buffer_atomic_pk_add_f16 v24, v27, s[28:31], 0 offen
	buffer_atomic_pk_add_f16 v25, v27, s[28:31], 4 offen
	ds_read_b64 v[24:25], v3 offset:8
	v_cndmask_b32_e64 v27, v12, v13, s[16:17]
	v_add_u32_e32 v23, v23, v27
	s_waitcnt lgkmcnt(0)
	buffer_atomic_pk_add_f16 v24, v23, s[28:31], 0 offen
	buffer_atomic_pk_add_f16 v25, v23, s[28:31], 4 offen
	v_accvgpr_read_b32 v24, a100
	v_cvt_f16_f32_e32 v24, v24
	s_waitcnt lgkmcnt(0)
	s_barrier
	v_add_u32_e32 v23, s18, v26
	ds_write_b16 v1, v24
	v_accvgpr_read_b32 v24, a101
	v_cvt_f16_f32_e32 v24, v24
	s_and_b64 s[16:17], vcc, s[14:15]
	v_lshlrev_b32_e32 v26, 1, v23
	v_cndmask_b32_e64 v27, v5, 0, s[16:17]
	ds_write_b16 v1, v24 offset:128
	v_accvgpr_read_b32 v24, a102
	v_cvt_f16_f32_e32 v24, v24
	v_add_u32_e32 v27, v26, v27
	s_and_b64 s[14:15], s[14:15], s[0:1]
	v_add_u32_e32 v23, s18, v23
	ds_write_b16 v1, v24 offset:256
	v_accvgpr_read_b32 v24, a103
	v_cvt_f16_f32_e32 v24, v24
	ds_write_b16 v1, v24 offset:384
	v_accvgpr_read_b32 v24, a99
	v_cvt_f16_f32_e32 v24, v24
	;; [unrolled: 3-line block ×5, first 2 shown]
	ds_write_b16 v1, v24 offset:64
	s_waitcnt lgkmcnt(0)
	s_barrier
	ds_read_b64 v[24:25], v3
	s_waitcnt lgkmcnt(0)
	buffer_atomic_pk_add_f16 v24, v27, s[28:31], 0 offen
	buffer_atomic_pk_add_f16 v25, v27, s[28:31], 4 offen
	ds_read_b64 v[24:25], v3 offset:8
	v_cndmask_b32_e64 v27, v2, 8, s[14:15]
	v_add_u32_e32 v26, v26, v27
	s_waitcnt lgkmcnt(0)
	buffer_atomic_pk_add_f16 v24, v26, s[28:31], 0 offen
	buffer_atomic_pk_add_f16 v25, v26, s[28:31], 4 offen
	v_accvgpr_read_b32 v24, a92
	v_cvt_f16_f32_e32 v24, v24
	s_waitcnt lgkmcnt(0)
	s_barrier
	v_add_u32_e32 v26, 0x80, v4
	ds_write_b16 v1, v24
	v_accvgpr_read_b32 v24, a93
	v_cvt_f16_f32_e32 v24, v24
	v_cmp_gt_i32_e64 s[14:15], s20, v26
	s_and_b64 s[16:17], vcc, s[14:15]
	v_lshlrev_b32_e32 v26, 1, v23
	ds_write_b16 v1, v24 offset:128
	v_accvgpr_read_b32 v24, a94
	v_cvt_f16_f32_e32 v24, v24
	v_cndmask_b32_e64 v27, v5, 0, s[16:17]
	v_add_u32_e32 v27, v26, v27
	s_and_b64 s[16:17], s[14:15], s[0:1]
	ds_write_b16 v1, v24 offset:256
	v_accvgpr_read_b32 v24, a95
	v_cvt_f16_f32_e32 v24, v24
	ds_write_b16 v1, v24 offset:384
	v_accvgpr_read_b32 v24, a91
	v_cvt_f16_f32_e32 v24, v24
	;; [unrolled: 3-line block ×5, first 2 shown]
	ds_write_b16 v1, v24 offset:64
	s_waitcnt lgkmcnt(0)
	s_barrier
	ds_read_b64 v[24:25], v3
	s_waitcnt lgkmcnt(0)
	buffer_atomic_pk_add_f16 v24, v27, s[28:31], 0 offen
	buffer_atomic_pk_add_f16 v25, v27, s[28:31], 4 offen
	ds_read_b64 v[24:25], v3 offset:8
	v_cndmask_b32_e64 v27, v2, 8, s[16:17]
	v_add_u32_e32 v27, v26, v27
	s_waitcnt lgkmcnt(0)
	buffer_atomic_pk_add_f16 v24, v27, s[28:31], 0 offen
	buffer_atomic_pk_add_f16 v25, v27, s[28:31], 4 offen
	v_accvgpr_read_b32 v24, a84
	v_cvt_f16_f32_e32 v24, v24
	s_waitcnt lgkmcnt(0)
	s_barrier
	s_and_b64 s[16:17], s[14:15], s[2:3]
	ds_write_b16 v1, v24
	v_accvgpr_read_b32 v24, a85
	v_cvt_f16_f32_e32 v24, v24
	v_cndmask_b32_e64 v27, v0, v14, s[16:17]
	v_add_u32_e32 v27, v26, v27
	s_and_b64 s[16:17], s[14:15], s[4:5]
	ds_write_b16 v1, v24 offset:128
	v_accvgpr_read_b32 v24, a86
	v_cvt_f16_f32_e32 v24, v24
	ds_write_b16 v1, v24 offset:256
	v_accvgpr_read_b32 v24, a87
	v_cvt_f16_f32_e32 v24, v24
	;; [unrolled: 3-line block ×6, first 2 shown]
	ds_write_b16 v1, v24 offset:64
	s_waitcnt lgkmcnt(0)
	s_barrier
	ds_read_b64 v[24:25], v3
	s_waitcnt lgkmcnt(0)
	buffer_atomic_pk_add_f16 v24, v27, s[28:31], 0 offen
	buffer_atomic_pk_add_f16 v25, v27, s[28:31], 4 offen
	ds_read_b64 v[24:25], v3 offset:8
	v_cndmask_b32_e64 v27, v15, v16, s[16:17]
	v_add_u32_e32 v27, v26, v27
	s_waitcnt lgkmcnt(0)
	buffer_atomic_pk_add_f16 v24, v27, s[28:31], 0 offen
	buffer_atomic_pk_add_f16 v25, v27, s[28:31], 4 offen
	v_accvgpr_read_b32 v24, a76
	v_cvt_f16_f32_e32 v24, v24
	s_waitcnt lgkmcnt(0)
	s_barrier
	s_and_b64 s[16:17], s[14:15], s[6:7]
	ds_write_b16 v1, v24
	v_accvgpr_read_b32 v24, a77
	v_cvt_f16_f32_e32 v24, v24
	v_cndmask_b32_e64 v27, v17, v18, s[16:17]
	v_add_u32_e32 v27, v26, v27
	s_and_b64 s[16:17], s[14:15], s[8:9]
	ds_write_b16 v1, v24 offset:128
	v_accvgpr_read_b32 v24, a78
	v_cvt_f16_f32_e32 v24, v24
	ds_write_b16 v1, v24 offset:256
	v_accvgpr_read_b32 v24, a79
	v_cvt_f16_f32_e32 v24, v24
	ds_write_b16 v1, v24 offset:384
	v_accvgpr_read_b32 v24, a75
	v_cvt_f16_f32_e32 v24, v24
	ds_write_b16 v1, v24 offset:448
	v_accvgpr_read_b32 v24, a74
	v_cvt_f16_f32_e32 v24, v24
	ds_write_b16 v1, v24 offset:320
	v_accvgpr_read_b32 v24, a73
	v_cvt_f16_f32_e32 v24, v24
	ds_write_b16 v1, v24 offset:192
	v_accvgpr_read_b32 v24, a72
	v_cvt_f16_f32_e32 v24, v24
	ds_write_b16 v1, v24 offset:64
	s_waitcnt lgkmcnt(0)
	s_barrier
	ds_read_b64 v[24:25], v3
	s_waitcnt lgkmcnt(0)
	buffer_atomic_pk_add_f16 v24, v27, s[28:31], 0 offen
	buffer_atomic_pk_add_f16 v25, v27, s[28:31], 4 offen
	ds_read_b64 v[24:25], v3 offset:8
	v_cndmask_b32_e64 v27, v19, v20, s[16:17]
	v_add_u32_e32 v27, v26, v27
	s_waitcnt lgkmcnt(0)
	buffer_atomic_pk_add_f16 v24, v27, s[28:31], 0 offen
	buffer_atomic_pk_add_f16 v25, v27, s[28:31], 4 offen
	v_accvgpr_read_b32 v24, a64
	v_cvt_f16_f32_e32 v24, v24
	s_waitcnt lgkmcnt(0)
	s_barrier
	s_and_b64 s[16:17], s[14:15], s[12:13]
	ds_write_b16 v1, v24
	v_accvgpr_read_b32 v24, a65
	v_cvt_f16_f32_e32 v24, v24
	v_add_u32_e32 v27, 0xc0, v23
	v_cndmask_b32_e64 v28, v5, 0, s[16:17]
	v_lshl_add_u32 v28, v27, 1, v28
	ds_write_b16 v1, v24 offset:128
	v_accvgpr_read_b32 v24, a66
	v_cvt_f16_f32_e32 v24, v24
	s_and_b64 s[14:15], s[14:15], s[10:11]
	ds_write_b16 v1, v24 offset:256
	v_accvgpr_read_b32 v24, a67
	v_cvt_f16_f32_e32 v24, v24
	ds_write_b16 v1, v24 offset:384
	v_accvgpr_read_b32 v24, a59
	v_cvt_f16_f32_e32 v24, v24
	ds_write_b16 v1, v24 offset:448
	v_accvgpr_read_b32 v24, a58
	v_cvt_f16_f32_e32 v24, v24
	ds_write_b16 v1, v24 offset:320
	v_accvgpr_read_b32 v24, a57
	v_cvt_f16_f32_e32 v24, v24
	ds_write_b16 v1, v24 offset:192
	v_accvgpr_read_b32 v24, a56
	v_cvt_f16_f32_e32 v24, v24
	ds_write_b16 v1, v24 offset:64
	s_waitcnt lgkmcnt(0)
	s_barrier
	ds_read_b64 v[24:25], v3
	s_waitcnt lgkmcnt(0)
	buffer_atomic_pk_add_f16 v24, v28, s[28:31], 0 offen
	buffer_atomic_pk_add_f16 v25, v28, s[28:31], 4 offen
	ds_read_b64 v[24:25], v3 offset:8
	v_cndmask_b32_e64 v28, v21, v22, s[14:15]
	v_add_u32_e32 v26, v26, v28
	s_waitcnt lgkmcnt(0)
	buffer_atomic_pk_add_f16 v24, v26, s[28:31], 0 offen
	buffer_atomic_pk_add_f16 v25, v26, s[28:31], 4 offen
	v_accvgpr_read_b32 v24, a68
	v_cvt_f16_f32_e32 v24, v24
	s_waitcnt lgkmcnt(0)
	s_barrier
	v_add_u32_e32 v26, 0xa0, v4
	ds_write_b16 v1, v24
	v_accvgpr_read_b32 v24, a69
	v_cvt_f16_f32_e32 v24, v24
	v_cmp_gt_i32_e64 s[14:15], s20, v26
	s_and_b64 s[16:17], s[14:15], s[12:13]
	v_add_lshl_u32 v26, v27, s18, 1
	ds_write_b16 v1, v24 offset:128
	v_accvgpr_read_b32 v24, a70
	v_cvt_f16_f32_e32 v24, v24
	v_cndmask_b32_e64 v27, v5, 0, s[16:17]
	v_add_u32_e32 v27, v26, v27
	s_and_b64 s[16:17], s[14:15], s[10:11]
	ds_write_b16 v1, v24 offset:256
	v_accvgpr_read_b32 v24, a71
	v_cvt_f16_f32_e32 v24, v24
	v_add_u32_e32 v4, 0xc0, v4
	ds_write_b16 v1, v24 offset:384
	v_accvgpr_read_b32 v24, a63
	v_cvt_f16_f32_e32 v24, v24
	ds_write_b16 v1, v24 offset:448
	v_accvgpr_read_b32 v24, a62
	v_cvt_f16_f32_e32 v24, v24
	;; [unrolled: 3-line block ×4, first 2 shown]
	ds_write_b16 v1, v24 offset:64
	s_waitcnt lgkmcnt(0)
	s_barrier
	ds_read_b64 v[24:25], v3
	s_waitcnt lgkmcnt(0)
	buffer_atomic_pk_add_f16 v24, v27, s[28:31], 0 offen
	buffer_atomic_pk_add_f16 v25, v27, s[28:31], 4 offen
	ds_read_b64 v[24:25], v3 offset:8
	v_cndmask_b32_e64 v27, v2, 8, s[16:17]
	v_add_u32_e32 v27, v26, v27
	s_waitcnt lgkmcnt(0)
	buffer_atomic_pk_add_f16 v24, v27, s[28:31], 0 offen
	buffer_atomic_pk_add_f16 v25, v27, s[28:31], 4 offen
	v_accvgpr_read_b32 v24, a52
	v_cvt_f16_f32_e32 v24, v24
	s_waitcnt lgkmcnt(0)
	s_barrier
	s_and_b64 s[16:17], s[14:15], s[6:7]
	ds_write_b16 v1, v24
	v_accvgpr_read_b32 v24, a53
	v_cvt_f16_f32_e32 v24, v24
	v_cndmask_b32_e64 v6, v6, v7, s[16:17]
	v_add_u32_e32 v6, v26, v6
	s_and_b64 s[16:17], s[14:15], s[8:9]
	ds_write_b16 v1, v24 offset:128
	v_accvgpr_read_b32 v24, a54
	v_cvt_f16_f32_e32 v24, v24
	v_cndmask_b32_e64 v8, v8, v9, s[16:17]
	v_add_u32_e32 v8, v26, v8
	s_and_b64 s[16:17], s[14:15], s[2:3]
	ds_write_b16 v1, v24 offset:256
	v_accvgpr_read_b32 v24, a55
	v_cvt_f16_f32_e32 v24, v24
	ds_write_b16 v1, v24 offset:384
	v_accvgpr_read_b32 v24, a51
	v_cvt_f16_f32_e32 v24, v24
	;; [unrolled: 3-line block ×5, first 2 shown]
	ds_write_b16 v1, v24 offset:64
	s_waitcnt lgkmcnt(0)
	s_barrier
	ds_read_b64 v[24:25], v3
	s_waitcnt lgkmcnt(0)
	buffer_atomic_pk_add_f16 v24, v6, s[28:31], 0 offen
	buffer_atomic_pk_add_f16 v25, v6, s[28:31], 4 offen
	ds_read_b64 v[6:7], v3 offset:8
	s_waitcnt lgkmcnt(0)
	buffer_atomic_pk_add_f16 v6, v8, s[28:31], 0 offen
	buffer_atomic_pk_add_f16 v7, v8, s[28:31], 4 offen
	v_accvgpr_read_b32 v6, a44
	v_cvt_f16_f32_e32 v6, v6
	s_waitcnt lgkmcnt(0)
	s_barrier
	v_cndmask_b32_e64 v8, v10, v11, s[16:17]
	ds_write_b16 v1, v6
	v_accvgpr_read_b32 v6, a45
	v_cvt_f16_f32_e32 v6, v6
	v_add_u32_e32 v8, v26, v8
	s_and_b64 s[16:17], s[14:15], s[4:5]
	ds_write_b16 v1, v6 offset:128
	v_accvgpr_read_b32 v6, a46
	v_cvt_f16_f32_e32 v6, v6
	ds_write_b16 v1, v6 offset:256
	v_accvgpr_read_b32 v6, a47
	v_cvt_f16_f32_e32 v6, v6
	;; [unrolled: 3-line block ×6, first 2 shown]
	ds_write_b16 v1, v6 offset:64
	s_waitcnt lgkmcnt(0)
	s_barrier
	ds_read_b64 v[6:7], v3
	s_waitcnt lgkmcnt(0)
	buffer_atomic_pk_add_f16 v6, v8, s[28:31], 0 offen
	buffer_atomic_pk_add_f16 v7, v8, s[28:31], 4 offen
	ds_read_b64 v[6:7], v3 offset:8
	v_cndmask_b32_e64 v8, v12, v13, s[16:17]
	v_add_u32_e32 v8, v26, v8
	s_waitcnt lgkmcnt(0)
	buffer_atomic_pk_add_f16 v6, v8, s[28:31], 0 offen
	buffer_atomic_pk_add_f16 v7, v8, s[28:31], 4 offen
	v_accvgpr_read_b32 v6, a228
	v_cvt_f16_f32_e32 v6, v6
	s_waitcnt lgkmcnt(0)
	s_barrier
	s_and_b64 s[16:17], vcc, s[14:15]
	ds_write_b16 v1, v6
	v_accvgpr_read_b32 v6, a229
	v_cvt_f16_f32_e32 v6, v6
	v_add_lshl_u32 v8, v23, s18, 1
	v_cndmask_b32_e64 v9, v5, 0, s[16:17]
	v_add_u32_e32 v9, v8, v9
	ds_write_b16 v1, v6 offset:128
	v_accvgpr_read_b32 v6, a230
	v_cvt_f16_f32_e32 v6, v6
	s_and_b64 s[14:15], s[14:15], s[0:1]
	ds_write_b16 v1, v6 offset:256
	v_accvgpr_read_b32 v6, a231
	v_cvt_f16_f32_e32 v6, v6
	ds_write_b16 v1, v6 offset:384
	v_accvgpr_read_b32 v6, a227
	v_cvt_f16_f32_e32 v6, v6
	;; [unrolled: 3-line block ×5, first 2 shown]
	ds_write_b16 v1, v6 offset:64
	s_waitcnt lgkmcnt(0)
	s_barrier
	ds_read_b64 v[6:7], v3
	s_waitcnt lgkmcnt(0)
	buffer_atomic_pk_add_f16 v6, v9, s[28:31], 0 offen
	buffer_atomic_pk_add_f16 v7, v9, s[28:31], 4 offen
	ds_read_b64 v[6:7], v3 offset:8
	v_cndmask_b32_e64 v9, v2, 8, s[14:15]
	v_add_u32_e32 v9, v8, v9
	s_waitcnt lgkmcnt(0)
	buffer_atomic_pk_add_f16 v6, v9, s[28:31], 0 offen
	buffer_atomic_pk_add_f16 v7, v9, s[28:31], 4 offen
	v_accvgpr_read_b32 v6, a36
	v_cvt_f16_f32_e32 v6, v6
	s_waitcnt lgkmcnt(0)
	s_barrier
	v_cmp_gt_i32_e64 s[14:15], s20, v4
	ds_write_b16 v1, v6
	v_accvgpr_read_b32 v6, a37
	v_cvt_f16_f32_e32 v6, v6
	s_and_b64 s[16:17], vcc, s[14:15]
	v_lshl_add_u32 v8, s25, 6, v8
	v_cndmask_b32_e64 v4, v5, 0, s[16:17]
	ds_write_b16 v1, v6 offset:128
	v_accvgpr_read_b32 v6, a38
	v_cvt_f16_f32_e32 v6, v6
	v_add_u32_e32 v4, v8, v4
	s_and_b64 s[0:1], s[14:15], s[0:1]
	v_cndmask_b32_e64 v2, v2, 8, s[0:1]
	ds_write_b16 v1, v6 offset:256
	v_accvgpr_read_b32 v6, a39
	v_cvt_f16_f32_e32 v6, v6
	v_add_u32_e32 v2, v8, v2
	s_and_b64 vcc, s[14:15], s[2:3]
	v_cndmask_b32_e32 v0, v0, v14, vcc
	ds_write_b16 v1, v6 offset:384
	v_accvgpr_read_b32 v6, a211
	v_cvt_f16_f32_e32 v6, v6
	v_add_u32_e32 v0, v8, v0
	s_and_b64 vcc, s[14:15], s[4:5]
	ds_write_b16 v1, v6 offset:448
	v_accvgpr_read_b32 v6, a210
	v_cvt_f16_f32_e32 v6, v6
	ds_write_b16 v1, v6 offset:320
	v_accvgpr_read_b32 v6, a209
	v_cvt_f16_f32_e32 v6, v6
	;; [unrolled: 3-line block ×3, first 2 shown]
	ds_write_b16 v1, v6 offset:64
	s_waitcnt lgkmcnt(0)
	s_barrier
	ds_read_b64 v[6:7], v3
	s_waitcnt lgkmcnt(0)
	buffer_atomic_pk_add_f16 v6, v4, s[28:31], 0 offen
	buffer_atomic_pk_add_f16 v7, v4, s[28:31], 4 offen
	ds_read_b64 v[4:5], v3 offset:8
	s_waitcnt lgkmcnt(0)
	buffer_atomic_pk_add_f16 v4, v2, s[28:31], 0 offen
	buffer_atomic_pk_add_f16 v5, v2, s[28:31], 4 offen
	v_accvgpr_read_b32 v2, a216
	v_cvt_f16_f32_e32 v2, v2
	s_waitcnt lgkmcnt(0)
	s_barrier
	ds_write_b16 v1, v2
	v_accvgpr_read_b32 v2, a217
	v_cvt_f16_f32_e32 v2, v2
	ds_write_b16 v1, v2 offset:128
	v_accvgpr_read_b32 v2, a218
	v_cvt_f16_f32_e32 v2, v2
	ds_write_b16 v1, v2 offset:256
	;; [unrolled: 3-line block ×7, first 2 shown]
	s_waitcnt lgkmcnt(0)
	s_barrier
	ds_read_b64 v[4:5], v3
	s_waitcnt lgkmcnt(0)
	buffer_atomic_pk_add_f16 v4, v0, s[28:31], 0 offen
	buffer_atomic_pk_add_f16 v5, v0, s[28:31], 4 offen
	ds_read_b64 v[4:5], v3 offset:8
	v_cndmask_b32_e32 v0, v15, v16, vcc
	v_add_u32_e32 v0, v8, v0
	s_waitcnt lgkmcnt(0)
	buffer_atomic_pk_add_f16 v4, v0, s[28:31], 0 offen
	buffer_atomic_pk_add_f16 v5, v0, s[28:31], 4 offen
	v_accvgpr_read_b32 v0, a184
	v_cvt_f16_f32_e32 v0, v0
	s_waitcnt lgkmcnt(0)
	s_barrier
	s_and_b64 vcc, s[14:15], s[6:7]
	ds_write_b16 v1, v0
	v_accvgpr_read_b32 v0, a185
	v_cvt_f16_f32_e32 v0, v0
	v_mov_b32_e32 v2, 0x80000180
	ds_write_b16 v1, v0 offset:128
	v_accvgpr_read_b32 v0, a186
	v_cvt_f16_f32_e32 v0, v0
	ds_write_b16 v1, v0 offset:256
	v_accvgpr_read_b32 v0, a187
	v_cvt_f16_f32_e32 v0, v0
	;; [unrolled: 3-line block ×6, first 2 shown]
	ds_write_b16 v1, v0 offset:64
	s_waitcnt lgkmcnt(0)
	s_barrier
	ds_read_b64 v[4:5], v3
	v_cndmask_b32_e32 v0, v17, v18, vcc
	v_add_u32_e32 v0, v8, v0
	s_waitcnt lgkmcnt(0)
	buffer_atomic_pk_add_f16 v4, v0, s[28:31], 0 offen
	buffer_atomic_pk_add_f16 v5, v0, s[28:31], 4 offen
	ds_read_b64 v[4:5], v3 offset:8
	s_and_b64 vcc, s[14:15], s[8:9]
	v_cndmask_b32_e32 v0, v19, v20, vcc
	v_add_u32_e32 v0, v8, v0
	s_waitcnt lgkmcnt(0)
	buffer_atomic_pk_add_f16 v4, v0, s[28:31], 0 offen
	buffer_atomic_pk_add_f16 v5, v0, s[28:31], 4 offen
	v_accvgpr_read_b32 v0, a188
	v_cvt_f16_f32_e32 v0, v0
	s_waitcnt lgkmcnt(0)
	s_barrier
	s_and_b64 vcc, s[14:15], s[12:13]
	ds_write_b16 v1, v0
	v_accvgpr_read_b32 v0, a189
	v_cvt_f16_f32_e32 v0, v0
	v_mov_b32_e32 v4, 0x180
	v_cndmask_b32_e32 v2, v2, v4, vcc
	v_add_u32_e32 v2, v8, v2
	ds_write_b16 v1, v0 offset:128
	v_accvgpr_read_b32 v0, a190
	v_cvt_f16_f32_e32 v0, v0
	s_and_b64 vcc, s[14:15], s[10:11]
	ds_write_b16 v1, v0 offset:256
	v_accvgpr_read_b32 v0, a191
	v_cvt_f16_f32_e32 v0, v0
	ds_write_b16 v1, v0 offset:384
	v_accvgpr_read_b32 v0, a175
	v_cvt_f16_f32_e32 v0, v0
	;; [unrolled: 3-line block ×5, first 2 shown]
	ds_write_b16 v1, v0 offset:64
	s_waitcnt lgkmcnt(0)
	s_barrier
	ds_read_b64 v[0:1], v3
	s_waitcnt lgkmcnt(0)
	buffer_atomic_pk_add_f16 v0, v2, s[28:31], 0 offen
	buffer_atomic_pk_add_f16 v1, v2, s[28:31], 4 offen
	ds_read_b64 v[0:1], v3 offset:8
	v_cndmask_b32_e32 v2, v21, v22, vcc
	v_add_u32_e32 v2, v8, v2
	s_waitcnt lgkmcnt(0)
	buffer_atomic_pk_add_f16 v0, v2, s[28:31], 0 offen
	buffer_atomic_pk_add_f16 v1, v2, s[28:31], 4 offen
	s_endpgm
	.section	.rodata,"a",@progbits
	.p2align	6, 0x0
	.amdhsa_kernel _ZN2ck27kernel_gemm_xdl_cshuffle_v3INS_28GridwiseGemm_xdl_cshuffle_v3INS_13tensor_layout4gemm8RowMajorENS3_11ColumnMajorES4_NS_9f8_fnuz_tES6_fDF16_DF16_NS_16tensor_operation12element_wise11PassThroughES9_S9_LNS7_6device18GemmSpecializationE0ELi256ELi224ELi256ELi128ELi16ELi16ELi16ELi16ELi7ELi8ENS_8SequenceIJLi8ELi32ELi1EEEENSC_IJLi1ELi0ELi2EEEESE_Li2ELi16ELi16ELb0ELi0ESD_SE_SE_Li2ELi16ELi16ELb0ELi0ELi1ELi2ENSC_IJLi1ELi32ELi1ELi8EEEELi4ELNS_26BlockGemmPipelineSchedulerE0ELNS_24BlockGemmPipelineVersionE2ES6_S6_Lb0ELb0ELb0ELi0ELb0EEELb1ELNS_25InMemoryDataOperationEnumE1ELi1ELNS_10TailNumberE10EEEvNT_8ArgumentE
		.amdhsa_group_segment_fixed_size 61440
		.amdhsa_private_segment_fixed_size 1152
		.amdhsa_kernarg_size 112
		.amdhsa_user_sgpr_count 2
		.amdhsa_user_sgpr_dispatch_ptr 0
		.amdhsa_user_sgpr_queue_ptr 0
		.amdhsa_user_sgpr_kernarg_segment_ptr 1
		.amdhsa_user_sgpr_dispatch_id 0
		.amdhsa_user_sgpr_kernarg_preload_length 0
		.amdhsa_user_sgpr_kernarg_preload_offset 0
		.amdhsa_user_sgpr_private_segment_size 0
		.amdhsa_uses_dynamic_stack 0
		.amdhsa_enable_private_segment 1
		.amdhsa_system_sgpr_workgroup_id_x 1
		.amdhsa_system_sgpr_workgroup_id_y 0
		.amdhsa_system_sgpr_workgroup_id_z 1
		.amdhsa_system_sgpr_workgroup_info 0
		.amdhsa_system_vgpr_workitem_id 0
		.amdhsa_next_free_vgpr 512
		.amdhsa_next_free_sgpr 32
		.amdhsa_accum_offset 256
		.amdhsa_reserve_vcc 1
		.amdhsa_float_round_mode_32 0
		.amdhsa_float_round_mode_16_64 0
		.amdhsa_float_denorm_mode_32 3
		.amdhsa_float_denorm_mode_16_64 3
		.amdhsa_dx10_clamp 1
		.amdhsa_ieee_mode 1
		.amdhsa_fp16_overflow 0
		.amdhsa_tg_split 0
		.amdhsa_exception_fp_ieee_invalid_op 0
		.amdhsa_exception_fp_denorm_src 0
		.amdhsa_exception_fp_ieee_div_zero 0
		.amdhsa_exception_fp_ieee_overflow 0
		.amdhsa_exception_fp_ieee_underflow 0
		.amdhsa_exception_fp_ieee_inexact 0
		.amdhsa_exception_int_div_zero 0
	.end_amdhsa_kernel
	.section	.text._ZN2ck27kernel_gemm_xdl_cshuffle_v3INS_28GridwiseGemm_xdl_cshuffle_v3INS_13tensor_layout4gemm8RowMajorENS3_11ColumnMajorES4_NS_9f8_fnuz_tES6_fDF16_DF16_NS_16tensor_operation12element_wise11PassThroughES9_S9_LNS7_6device18GemmSpecializationE0ELi256ELi224ELi256ELi128ELi16ELi16ELi16ELi16ELi7ELi8ENS_8SequenceIJLi8ELi32ELi1EEEENSC_IJLi1ELi0ELi2EEEESE_Li2ELi16ELi16ELb0ELi0ESD_SE_SE_Li2ELi16ELi16ELb0ELi0ELi1ELi2ENSC_IJLi1ELi32ELi1ELi8EEEELi4ELNS_26BlockGemmPipelineSchedulerE0ELNS_24BlockGemmPipelineVersionE2ES6_S6_Lb0ELb0ELb0ELi0ELb0EEELb1ELNS_25InMemoryDataOperationEnumE1ELi1ELNS_10TailNumberE10EEEvNT_8ArgumentE,"axG",@progbits,_ZN2ck27kernel_gemm_xdl_cshuffle_v3INS_28GridwiseGemm_xdl_cshuffle_v3INS_13tensor_layout4gemm8RowMajorENS3_11ColumnMajorES4_NS_9f8_fnuz_tES6_fDF16_DF16_NS_16tensor_operation12element_wise11PassThroughES9_S9_LNS7_6device18GemmSpecializationE0ELi256ELi224ELi256ELi128ELi16ELi16ELi16ELi16ELi7ELi8ENS_8SequenceIJLi8ELi32ELi1EEEENSC_IJLi1ELi0ELi2EEEESE_Li2ELi16ELi16ELb0ELi0ESD_SE_SE_Li2ELi16ELi16ELb0ELi0ELi1ELi2ENSC_IJLi1ELi32ELi1ELi8EEEELi4ELNS_26BlockGemmPipelineSchedulerE0ELNS_24BlockGemmPipelineVersionE2ES6_S6_Lb0ELb0ELb0ELi0ELb0EEELb1ELNS_25InMemoryDataOperationEnumE1ELi1ELNS_10TailNumberE10EEEvNT_8ArgumentE,comdat
.Lfunc_end1:
	.size	_ZN2ck27kernel_gemm_xdl_cshuffle_v3INS_28GridwiseGemm_xdl_cshuffle_v3INS_13tensor_layout4gemm8RowMajorENS3_11ColumnMajorES4_NS_9f8_fnuz_tES6_fDF16_DF16_NS_16tensor_operation12element_wise11PassThroughES9_S9_LNS7_6device18GemmSpecializationE0ELi256ELi224ELi256ELi128ELi16ELi16ELi16ELi16ELi7ELi8ENS_8SequenceIJLi8ELi32ELi1EEEENSC_IJLi1ELi0ELi2EEEESE_Li2ELi16ELi16ELb0ELi0ESD_SE_SE_Li2ELi16ELi16ELb0ELi0ELi1ELi2ENSC_IJLi1ELi32ELi1ELi8EEEELi4ELNS_26BlockGemmPipelineSchedulerE0ELNS_24BlockGemmPipelineVersionE2ES6_S6_Lb0ELb0ELb0ELi0ELb0EEELb1ELNS_25InMemoryDataOperationEnumE1ELi1ELNS_10TailNumberE10EEEvNT_8ArgumentE, .Lfunc_end1-_ZN2ck27kernel_gemm_xdl_cshuffle_v3INS_28GridwiseGemm_xdl_cshuffle_v3INS_13tensor_layout4gemm8RowMajorENS3_11ColumnMajorES4_NS_9f8_fnuz_tES6_fDF16_DF16_NS_16tensor_operation12element_wise11PassThroughES9_S9_LNS7_6device18GemmSpecializationE0ELi256ELi224ELi256ELi128ELi16ELi16ELi16ELi16ELi7ELi8ENS_8SequenceIJLi8ELi32ELi1EEEENSC_IJLi1ELi0ELi2EEEESE_Li2ELi16ELi16ELb0ELi0ESD_SE_SE_Li2ELi16ELi16ELb0ELi0ELi1ELi2ENSC_IJLi1ELi32ELi1ELi8EEEELi4ELNS_26BlockGemmPipelineSchedulerE0ELNS_24BlockGemmPipelineVersionE2ES6_S6_Lb0ELb0ELb0ELi0ELb0EEELb1ELNS_25InMemoryDataOperationEnumE1ELi1ELNS_10TailNumberE10EEEvNT_8ArgumentE
                                        ; -- End function
	.section	.AMDGPU.csdata,"",@progbits
; Kernel info:
; codeLenInByte = 38968
; NumSgprs: 38
; NumVgprs: 256
; NumAgprs: 256
; TotalNumVgprs: 512
; ScratchSize: 1152
; MemoryBound: 0
; FloatMode: 240
; IeeeMode: 1
; LDSByteSize: 61440 bytes/workgroup (compile time only)
; SGPRBlocks: 4
; VGPRBlocks: 63
; NumSGPRsForWavesPerEU: 38
; NumVGPRsForWavesPerEU: 512
; AccumOffset: 256
; Occupancy: 1
; WaveLimiterHint : 0
; COMPUTE_PGM_RSRC2:SCRATCH_EN: 1
; COMPUTE_PGM_RSRC2:USER_SGPR: 2
; COMPUTE_PGM_RSRC2:TRAP_HANDLER: 0
; COMPUTE_PGM_RSRC2:TGID_X_EN: 1
; COMPUTE_PGM_RSRC2:TGID_Y_EN: 0
; COMPUTE_PGM_RSRC2:TGID_Z_EN: 1
; COMPUTE_PGM_RSRC2:TIDIG_COMP_CNT: 0
; COMPUTE_PGM_RSRC3_GFX90A:ACCUM_OFFSET: 63
; COMPUTE_PGM_RSRC3_GFX90A:TG_SPLIT: 0
	.section	.text._ZN2ck27kernel_gemm_xdl_cshuffle_v3INS_28GridwiseGemm_xdl_cshuffle_v3INS_13tensor_layout4gemm8RowMajorENS3_11ColumnMajorES4_NS_9f8_fnuz_tES6_fDF16_DF16_NS_16tensor_operation12element_wise11PassThroughES9_S9_LNS7_6device18GemmSpecializationE0ELi256ELi224ELi256ELi128ELi16ELi16ELi16ELi16ELi7ELi8ENS_8SequenceIJLi8ELi32ELi1EEEENSC_IJLi1ELi0ELi2EEEESE_Li2ELi16ELi16ELb0ELi0ESD_SE_SE_Li2ELi16ELi16ELb0ELi0ELi1ELi2ENSC_IJLi1ELi32ELi1ELi8EEEELi4ELNS_26BlockGemmPipelineSchedulerE0ELNS_24BlockGemmPipelineVersionE2ES6_S6_Lb0ELb0ELb0ELi0ELb0EEELb1ELNS_25InMemoryDataOperationEnumE0ELi1ELNS_10TailNumberE10EEEvNT_8ArgumentE,"axG",@progbits,_ZN2ck27kernel_gemm_xdl_cshuffle_v3INS_28GridwiseGemm_xdl_cshuffle_v3INS_13tensor_layout4gemm8RowMajorENS3_11ColumnMajorES4_NS_9f8_fnuz_tES6_fDF16_DF16_NS_16tensor_operation12element_wise11PassThroughES9_S9_LNS7_6device18GemmSpecializationE0ELi256ELi224ELi256ELi128ELi16ELi16ELi16ELi16ELi7ELi8ENS_8SequenceIJLi8ELi32ELi1EEEENSC_IJLi1ELi0ELi2EEEESE_Li2ELi16ELi16ELb0ELi0ESD_SE_SE_Li2ELi16ELi16ELb0ELi0ELi1ELi2ENSC_IJLi1ELi32ELi1ELi8EEEELi4ELNS_26BlockGemmPipelineSchedulerE0ELNS_24BlockGemmPipelineVersionE2ES6_S6_Lb0ELb0ELb0ELi0ELb0EEELb1ELNS_25InMemoryDataOperationEnumE0ELi1ELNS_10TailNumberE10EEEvNT_8ArgumentE,comdat
	.protected	_ZN2ck27kernel_gemm_xdl_cshuffle_v3INS_28GridwiseGemm_xdl_cshuffle_v3INS_13tensor_layout4gemm8RowMajorENS3_11ColumnMajorES4_NS_9f8_fnuz_tES6_fDF16_DF16_NS_16tensor_operation12element_wise11PassThroughES9_S9_LNS7_6device18GemmSpecializationE0ELi256ELi224ELi256ELi128ELi16ELi16ELi16ELi16ELi7ELi8ENS_8SequenceIJLi8ELi32ELi1EEEENSC_IJLi1ELi0ELi2EEEESE_Li2ELi16ELi16ELb0ELi0ESD_SE_SE_Li2ELi16ELi16ELb0ELi0ELi1ELi2ENSC_IJLi1ELi32ELi1ELi8EEEELi4ELNS_26BlockGemmPipelineSchedulerE0ELNS_24BlockGemmPipelineVersionE2ES6_S6_Lb0ELb0ELb0ELi0ELb0EEELb1ELNS_25InMemoryDataOperationEnumE0ELi1ELNS_10TailNumberE10EEEvNT_8ArgumentE ; -- Begin function _ZN2ck27kernel_gemm_xdl_cshuffle_v3INS_28GridwiseGemm_xdl_cshuffle_v3INS_13tensor_layout4gemm8RowMajorENS3_11ColumnMajorES4_NS_9f8_fnuz_tES6_fDF16_DF16_NS_16tensor_operation12element_wise11PassThroughES9_S9_LNS7_6device18GemmSpecializationE0ELi256ELi224ELi256ELi128ELi16ELi16ELi16ELi16ELi7ELi8ENS_8SequenceIJLi8ELi32ELi1EEEENSC_IJLi1ELi0ELi2EEEESE_Li2ELi16ELi16ELb0ELi0ESD_SE_SE_Li2ELi16ELi16ELb0ELi0ELi1ELi2ENSC_IJLi1ELi32ELi1ELi8EEEELi4ELNS_26BlockGemmPipelineSchedulerE0ELNS_24BlockGemmPipelineVersionE2ES6_S6_Lb0ELb0ELb0ELi0ELb0EEELb1ELNS_25InMemoryDataOperationEnumE0ELi1ELNS_10TailNumberE10EEEvNT_8ArgumentE
	.globl	_ZN2ck27kernel_gemm_xdl_cshuffle_v3INS_28GridwiseGemm_xdl_cshuffle_v3INS_13tensor_layout4gemm8RowMajorENS3_11ColumnMajorES4_NS_9f8_fnuz_tES6_fDF16_DF16_NS_16tensor_operation12element_wise11PassThroughES9_S9_LNS7_6device18GemmSpecializationE0ELi256ELi224ELi256ELi128ELi16ELi16ELi16ELi16ELi7ELi8ENS_8SequenceIJLi8ELi32ELi1EEEENSC_IJLi1ELi0ELi2EEEESE_Li2ELi16ELi16ELb0ELi0ESD_SE_SE_Li2ELi16ELi16ELb0ELi0ELi1ELi2ENSC_IJLi1ELi32ELi1ELi8EEEELi4ELNS_26BlockGemmPipelineSchedulerE0ELNS_24BlockGemmPipelineVersionE2ES6_S6_Lb0ELb0ELb0ELi0ELb0EEELb1ELNS_25InMemoryDataOperationEnumE0ELi1ELNS_10TailNumberE10EEEvNT_8ArgumentE
	.p2align	8
	.type	_ZN2ck27kernel_gemm_xdl_cshuffle_v3INS_28GridwiseGemm_xdl_cshuffle_v3INS_13tensor_layout4gemm8RowMajorENS3_11ColumnMajorES4_NS_9f8_fnuz_tES6_fDF16_DF16_NS_16tensor_operation12element_wise11PassThroughES9_S9_LNS7_6device18GemmSpecializationE0ELi256ELi224ELi256ELi128ELi16ELi16ELi16ELi16ELi7ELi8ENS_8SequenceIJLi8ELi32ELi1EEEENSC_IJLi1ELi0ELi2EEEESE_Li2ELi16ELi16ELb0ELi0ESD_SE_SE_Li2ELi16ELi16ELb0ELi0ELi1ELi2ENSC_IJLi1ELi32ELi1ELi8EEEELi4ELNS_26BlockGemmPipelineSchedulerE0ELNS_24BlockGemmPipelineVersionE2ES6_S6_Lb0ELb0ELb0ELi0ELb0EEELb1ELNS_25InMemoryDataOperationEnumE0ELi1ELNS_10TailNumberE10EEEvNT_8ArgumentE,@function
_ZN2ck27kernel_gemm_xdl_cshuffle_v3INS_28GridwiseGemm_xdl_cshuffle_v3INS_13tensor_layout4gemm8RowMajorENS3_11ColumnMajorES4_NS_9f8_fnuz_tES6_fDF16_DF16_NS_16tensor_operation12element_wise11PassThroughES9_S9_LNS7_6device18GemmSpecializationE0ELi256ELi224ELi256ELi128ELi16ELi16ELi16ELi16ELi7ELi8ENS_8SequenceIJLi8ELi32ELi1EEEENSC_IJLi1ELi0ELi2EEEESE_Li2ELi16ELi16ELb0ELi0ESD_SE_SE_Li2ELi16ELi16ELb0ELi0ELi1ELi2ENSC_IJLi1ELi32ELi1ELi8EEEELi4ELNS_26BlockGemmPipelineSchedulerE0ELNS_24BlockGemmPipelineVersionE2ES6_S6_Lb0ELb0ELb0ELi0ELb0EEELb1ELNS_25InMemoryDataOperationEnumE0ELi1ELNS_10TailNumberE10EEEvNT_8ArgumentE: ; @_ZN2ck27kernel_gemm_xdl_cshuffle_v3INS_28GridwiseGemm_xdl_cshuffle_v3INS_13tensor_layout4gemm8RowMajorENS3_11ColumnMajorES4_NS_9f8_fnuz_tES6_fDF16_DF16_NS_16tensor_operation12element_wise11PassThroughES9_S9_LNS7_6device18GemmSpecializationE0ELi256ELi224ELi256ELi128ELi16ELi16ELi16ELi16ELi7ELi8ENS_8SequenceIJLi8ELi32ELi1EEEENSC_IJLi1ELi0ELi2EEEESE_Li2ELi16ELi16ELb0ELi0ESD_SE_SE_Li2ELi16ELi16ELb0ELi0ELi1ELi2ENSC_IJLi1ELi32ELi1ELi8EEEELi4ELNS_26BlockGemmPipelineSchedulerE0ELNS_24BlockGemmPipelineVersionE2ES6_S6_Lb0ELb0ELb0ELi0ELb0EEELb1ELNS_25InMemoryDataOperationEnumE0ELi1ELNS_10TailNumberE10EEEvNT_8ArgumentE
; %bb.0:
	s_load_dwordx8 s[20:27], s[0:1], 0x10
	s_load_dword s12, s[0:1], 0x68
	s_load_dwordx2 s[8:9], s[0:1], 0x60
	s_load_dwordx4 s[4:7], s[0:1], 0x50
	v_mov_b32_e32 v76, v0
	s_waitcnt lgkmcnt(0)
	s_cmp_gt_i32 s26, 1
	s_cselect_b64 s[10:11], -1, 0
	s_bitcmp1_b32 s12, 0
	s_cselect_b64 s[12:13], -1, 0
	s_and_b64 s[10:11], s[10:11], s[12:13]
	s_andn2_b64 vcc, exec, s[10:11]
	s_mov_b64 s[10:11], 0
	s_cbranch_vccnz .LBB2_2
; %bb.1:
	s_mul_i32 s10, s20, s3
	s_mul_i32 s10, s10, s21
	s_ashr_i32 s11, s10, 31
.LBB2_2:
	s_load_dword s12, s[0:1], 0x34
	s_load_dword s16, s[0:1], 0x3c
	s_add_i32 s0, s20, -1
	s_cmpk_lt_u32 s0, 0xe0
	s_mov_b32 s13, 0
	s_cbranch_scc1 .LBB2_10
; %bb.3:
	s_add_i32 s0, s21, -1
	s_cmpk_lt_u32 s0, 0x100
	s_mov_b32 s0, 0
	s_cbranch_scc1 .LBB2_9
; %bb.4:
	s_add_i32 s0, s20, 0xdf
	s_mul_hi_i32 s1, s0, 0x92492493
	s_add_i32 s1, s1, s0
	s_lshr_b32 s0, s1, 31
	s_ashr_i32 s14, s1, 7
	s_add_i32 s14, s14, s0
	s_add_i32 s0, s21, 0xff
	s_ashr_i32 s1, s0, 31
	s_lshr_b32 s1, s1, 24
	s_add_i32 s0, s0, s1
	s_ashr_i32 s13, s0, 8
	s_mul_i32 s0, s13, s14
	s_add_i32 s1, s0, 7
	s_ashr_i32 s15, s1, 31
	s_lshr_b32 s15, s15, 29
	s_add_i32 s1, s1, s15
	s_ashr_i32 s15, s1, 3
	s_and_b32 s1, s1, -8
	s_sub_i32 s17, s0, s1
	s_ashr_i32 s0, s2, 31
	s_lshr_b32 s0, s0, 29
	s_add_i32 s19, s2, s0
	s_and_b32 s0, s19, -8
	s_add_i32 s17, s17, 8
	s_sub_i32 s18, s2, s0
	s_cmp_gt_i32 s18, s17
	s_cbranch_scc1 .LBB2_6
; %bb.5:
	s_mul_i32 s2, s15, s18
	s_ashr_i32 s0, s19, 3
	s_cbranch_execz .LBB2_7
	s_branch .LBB2_8
.LBB2_6:
                                        ; implicit-def: $sgpr2
	s_ashr_i32 s0, s19, 3
.LBB2_7:
	s_add_i32 s1, s15, -1
	s_mul_i32 s1, s1, s18
	s_add_i32 s2, s17, s1
.LBB2_8:
	s_abs_i32 s1, s13
	v_cvt_f32_u32_e32 v0, s1
	s_sub_i32 s17, 0, s1
	s_add_i32 s0, s2, s0
	s_abs_i32 s15, s0
	v_rcp_iflag_f32_e32 v0, v0
	s_xor_b32 s2, s0, s13
	s_ashr_i32 s2, s2, 31
	v_mul_f32_e32 v0, 0x4f7ffffe, v0
	v_cvt_u32_f32_e32 v0, v0
	s_nop 0
	v_readfirstlane_b32 s18, v0
	s_mul_i32 s17, s17, s18
	s_mul_hi_u32 s17, s18, s17
	s_add_i32 s18, s18, s17
	s_mul_hi_u32 s17, s15, s18
	s_mul_i32 s18, s17, s1
	s_sub_i32 s15, s15, s18
	s_add_i32 s19, s17, 1
	s_sub_i32 s18, s15, s1
	s_cmp_ge_u32 s15, s1
	s_cselect_b32 s17, s19, s17
	s_cselect_b32 s15, s18, s15
	s_add_i32 s18, s17, 1
	s_cmp_ge_u32 s15, s1
	s_cselect_b32 s1, s18, s17
	s_xor_b32 s1, s1, s2
	s_lshr_b32 s15, s14, 30
	s_sub_i32 s1, s1, s2
	s_add_i32 s15, s14, s15
	s_mul_i32 s2, s1, s13
	s_sub_i32 s0, s0, s2
	s_and_b32 s2, s15, -4
	s_sub_i32 s14, s14, s2
	s_cmp_ge_i32 s1, s2
	s_cselect_b32 s2, s14, 4
	s_abs_i32 s15, s2
	v_cvt_f32_u32_e32 v0, s15
	s_ashr_i32 s14, s1, 31
	s_lshr_b32 s14, s14, 30
	s_add_i32 s14, s1, s14
	v_rcp_iflag_f32_e32 v0, v0
	s_and_b32 s14, s14, -4
	s_sub_i32 s14, s1, s14
	s_sub_i32 s18, 0, s15
	v_mul_f32_e32 v0, 0x4f7ffffe, v0
	v_cvt_u32_f32_e32 v0, v0
	s_mul_i32 s13, s14, s13
	s_add_i32 s13, s13, s0
	s_abs_i32 s17, s13
	v_readfirstlane_b32 s19, v0
	s_mul_i32 s18, s18, s19
	s_mul_hi_u32 s18, s19, s18
	s_add_i32 s19, s19, s18
	s_mul_hi_u32 s18, s17, s19
	s_mul_i32 s19, s18, s15
	s_xor_b32 s0, s13, s2
	s_sub_i32 s17, s17, s19
	s_ashr_i32 s0, s0, 31
	s_add_i32 s19, s18, 1
	s_sub_i32 s27, s17, s15
	s_cmp_ge_u32 s17, s15
	s_cselect_b32 s18, s19, s18
	s_cselect_b32 s17, s27, s17
	s_add_i32 s19, s18, 1
	s_cmp_ge_u32 s17, s15
	s_cselect_b32 s15, s19, s18
	s_xor_b32 s15, s15, s0
	s_sub_i32 s0, s15, s0
	s_mul_i32 s2, s0, s2
	s_sub_i32 s2, s13, s2
	s_add_i32 s2, s2, s1
	s_sub_i32 s2, s2, s14
.LBB2_9:
	s_mov_b32 s13, s2
	s_mov_b32 s2, s0
.LBB2_10:
	s_waitcnt lgkmcnt(0)
	s_mul_i32 s14, s12, s3
	s_ashr_i32 s15, s14, 31
	s_add_u32 s0, s4, s14
	s_addc_u32 s1, s5, s15
	s_add_u32 s4, s6, s14
	s_addc_u32 s5, s7, s15
	s_add_u32 s14, 0, 0
	s_addc_u32 s15, s20, -1
	s_add_u32 s7, 0, 0
	s_addc_u32 s7, s21, -1
	s_add_i32 s17, s26, -1
	s_mul_i32 s18, s17, s12
	s_sub_i32 s18, s22, s18
	s_cmp_lt_u32 s3, s17
	s_cselect_b32 s17, s12, s18
	s_mul_i32 s12, s13, 0xe0
	v_lshrrev_b32_e32 v77, 3, v76
	v_and_b32_e32 v79, 7, v76
	v_mul_u32_u24_e32 v1, 7, v77
	v_mad_u32_u24 v2, v77, 7, s12
	v_lshlrev_b32_e32 v0, 4, v79
	s_lshl_b32 s13, s2, 8
	v_mad_u64_u32 v[4:5], s[2:3], v2, s23, v[0:1]
	v_xor_b32_e32 v1, v1, v76
	v_and_b32_e32 v15, 7, v1
	v_mul_u32_u24_e32 v1, 0x380, v77
	v_lshl_or_b32 v72, v15, 4, v1
	v_and_b32_e32 v1, 0xf8, v76
	v_add_u32_e32 v2, s13, v1
	v_mad_u64_u32 v[6:7], s[2:3], v2, s24, v[0:1]
	v_lshl_or_b32 v73, v1, 7, v0
	v_and_b32_e32 v0, 63, v76
	v_and_b32_e32 v1, 48, v76
	v_sub_u32_e32 v0, v0, v1
	v_and_b32_e32 v1, 16, v77
	v_add_u32_e32 v14, v0, v1
	v_lshrrev_b16_e32 v1, 13, v14
	v_add_u16_e32 v1, v14, v1
	v_and_b32_e32 v1, -8, v1
	v_sub_u16_e32 v31, v14, v1
	v_lshrrev_b32_e32 v1, 2, v76
	v_and_b32_e32 v1, 16, v1
	scratch_store_dword off, v1, off offset:1144 ; 4-byte Folded Spill
	v_add_u32_e32 v0, v0, v1
	v_mov_b32_e32 v1, 12
	v_lshrrev_b16_sdwa v2, v1, sext(v0) dst_sel:DWORD dst_unused:UNUSED_PAD src0_sel:DWORD src1_sel:BYTE_0
	v_and_b32_e32 v2, 7, v2
	v_add_u16_e32 v2, v0, v2
	s_ashr_i32 s2, s16, 31
	v_and_b32_e32 v2, 0xf8, v2
	s_lshr_b32 s2, s2, 29
	v_and_b32_e32 v80, 6, v77
	v_sub_u16_e32 v26, v0, v2
	s_add_i32 s16, s16, s2
	s_mul_i32 s6, s15, s23
	s_mul_i32 s7, s7, s24
	v_xor_b32_sdwa v28, v80, sext(v31) dst_sel:DWORD dst_unused:UNUSED_PAD src0_sel:DWORD src1_sel:WORD_0
	v_lshlrev_b32_e32 v30, 7, v14
	v_xor_b32_sdwa v24, v80, sext(v26) dst_sel:DWORD dst_unused:UNUSED_PAD src0_sel:DWORD src1_sel:BYTE_0
	v_lshlrev_b32_e32 v25, 7, v0
	s_ashr_i32 s16, s16, 3
	; sched_barrier mask(0x00000000)
	s_add_i32 s2, s17, s6
	s_mov_b32 s3, 0x20000
	buffer_load_dwordx4 v[16:19], v4, s[0:3], 0 offen
	v_add_u32_e32 v2, s23, v4
	buffer_load_dwordx4 v[20:23], v2, s[0:3], 0 offen
	v_add_u32_e32 v2, s23, v2
	;; [unrolled: 2-line block ×6, first 2 shown]
	buffer_load_dwordx4 v[48:51], v74, s[0:3], 0 offen
	v_accvgpr_write_b32 a0, v4
	v_mov_b32_e32 v4, v6
	s_add_i32 s6, s17, s7
	s_mov_b32 s7, s3
	v_add_u32_e32 v2, s24, v4
	buffer_load_dwordx4 v[52:55], v6, s[4:7], 0 offen
	buffer_load_dwordx4 v[56:59], v2, s[4:7], 0 offen
	v_add_u32_e32 v2, s24, v2
	buffer_load_dwordx4 v[60:63], v2, s[4:7], 0 offen
	v_add_u32_e32 v2, s24, v2
	;; [unrolled: 2-line block ×5, first 2 shown]
	v_accvgpr_write_b32 a2, v6
	buffer_load_dwordx4 v[6:9], v2, s[4:7], 0 offen
	v_add_u32_e32 v75, s24, v2
	buffer_load_dwordx4 v[2:5], v75, s[4:7], 0 offen
	s_mul_i32 s17, s23, -6
	scratch_store_dword off, v77, off offset:1140 ; 4-byte Folded Spill
	scratch_store_dword off, v76, off offset:1136 ; 4-byte Folded Spill
	s_addk_i32 s17, 0x80
	v_add_u32_e32 v74, s17, v74
	s_mul_i32 s17, s24, -7
	s_addk_i32 s17, 0x80
	v_add_u32_e32 v75, s17, v75
	v_or_b32_e32 v90, 1, v80
	v_xor_b32_sdwa v31, v90, sext(v31) dst_sel:DWORD dst_unused:UNUSED_PAD src0_sel:DWORD src1_sel:WORD_0
	v_lshlrev_b32_e32 v31, 4, v31
	v_xor_b32_e32 v29, v90, v79
	v_add_u16_e32 v0, 32, v0
	v_lshrrev_b16_sdwa v1, v1, sext(v0) dst_sel:DWORD dst_unused:UNUSED_PAD src0_sel:DWORD src1_sel:BYTE_0
	v_and_b32_e32 v1, 7, v1
	v_add_u16_e32 v1, v0, v1
	v_and_b32_e32 v1, 0xf8, v1
	v_xor_b32_sdwa v26, v90, sext(v26) dst_sel:DWORD dst_unused:UNUSED_PAD src0_sel:DWORD src1_sel:BYTE_0
	v_lshlrev_b32_e32 v26, 4, v26
	s_waitcnt vmcnt(16)
	ds_write_b128 v72, v[16:19]
	v_mad_u32_u24 v16, v77, 7, 1
	v_xor_b32_e32 v16, v16, v76
	v_and_b32_e32 v16, 7, v16
	v_mad_u32_u24 v18, v77, 7, 2
	v_sub_u32_e32 v17, v16, v15
	v_xor_b32_e32 v18, v18, v76
	v_lshlrev_b32_e32 v17, 4, v17
	v_and_b32_e32 v18, 7, v18
	v_add_u32_e32 v78, 0x80, v17
	v_add_u32_e32 v17, v72, v17
	v_sub_u32_e32 v16, v18, v16
	v_mov_b32_e32 v19, 0x80
	s_waitcnt vmcnt(15)
	ds_write_b128 v17, v[20:23] offset:128
	v_lshl_add_u32 v20, v16, 4, v19
	v_add3_u32 v16, v78, v72, v20
	scratch_store_dword off, v20, off offset:1028 ; 4-byte Folded Spill
	v_add_u32_e32 v17, v17, v20
	v_mad_u32_u24 v20, v77, 7, 3
	v_xor_b32_e32 v20, v20, v76
	v_and_b32_e32 v20, 7, v20
	v_sub_u32_e32 v18, v20, v18
	v_lshl_add_u32 v21, v18, 4, v19
	v_xor_b32_e32 v18, 4, v15
	v_sub_u32_e32 v20, v18, v20
	s_waitcnt vmcnt(15)
	ds_write_b128 v17, v[32:35] offset:128
	v_add_u32_e32 v17, v17, v21
	v_lshl_add_u32 v20, v20, 4, v19
	s_waitcnt vmcnt(14)
	ds_write_b128 v17, v[36:39] offset:128
	v_add3_u32 v16, v16, v21, v20
	scratch_store_dword off, v20, off offset:1036 ; 4-byte Folded Spill
	v_add_u32_e32 v17, v17, v20
	v_mad_u32_u24 v20, v77, 7, 5
	v_xor_b32_e32 v20, v20, v76
	v_and_b32_e32 v20, 7, v20
	v_sub_u32_e32 v18, v20, v18
	scratch_store_dword off, v21, off offset:1032 ; 4-byte Folded Spill
	v_lshl_add_u32 v21, v18, 4, v19
	v_mad_u32_u24 v18, v77, 7, 6
	v_xor_b32_e32 v18, v18, v76
	v_and_b32_e32 v18, 7, v18
	v_sub_u32_e32 v20, v18, v20
	v_lshl_add_u32 v20, v20, 4, v19
	s_waitcnt vmcnt(15)
	ds_write_b128 v17, v[40:43] offset:128
	v_add_u32_e32 v17, v17, v21
	v_add3_u32 v16, v16, v21, v20
	scratch_store_dword off, v78, off offset:1024 ; 4-byte Folded Spill
	s_waitcnt vmcnt(15)
	ds_write_b128 v17, v[44:47] offset:128
	scratch_store_dword off, v21, off offset:1040 ; 4-byte Folded Spill
	scratch_store_dword off, v16, off offset:492 ; 4-byte Folded Spill
	;; [unrolled: 1-line block ×3, first 2 shown]
	v_add_u32_e32 v16, v17, v20
	s_waitcnt vmcnt(17)
	ds_write_b128 v16, v[48:51] offset:128
	v_sub_u32_e32 v15, v15, v18
	v_mov_b32_e32 v16, 0xfffffd00
	v_lshl_add_u32 v15, v15, 4, v16
	scratch_store_dword off, v15, off offset:1048 ; 4-byte Folded Spill
	v_xor_b32_e32 v15, 1, v79
	v_sub_u32_e32 v16, v15, v79
	v_lshlrev_b32_e32 v17, 4, v16
	v_add_u32_e32 v16, 0x80, v17
	scratch_store_dword off, v17, off offset:1052 ; 4-byte Folded Spill
	v_add_u32_e32 v17, v73, v17
	s_waitcnt vmcnt(18)
	ds_write_b128 v73, v[52:55] offset:28672
	s_waitcnt vmcnt(17)
	ds_write_b128 v17, v[56:59] offset:28800
	v_xor_b32_e32 v17, 2, v79
	v_sub_u32_e32 v15, v17, v15
	v_xor_b32_e32 v18, 3, v79
	scratch_store_dword off, v16, off offset:1056 ; 4-byte Folded Spill
	v_add_u32_e32 v16, v16, v73
	v_lshlrev_b32_e32 v15, 4, v15
	v_sub_u32_e32 v17, v18, v17
	v_add_u32_e32 v20, 0x80, v15
	v_add_u32_e32 v15, v15, v16
	v_lshl_add_u32 v17, v17, 4, v19
	s_waitcnt vmcnt(17)
	ds_write_b128 v15, v[60:63] offset:28800
	v_add3_u32 v16, v20, v16, v17
	scratch_store_dword off, v17, off offset:1064 ; 4-byte Folded Spill
	v_add_u32_e32 v15, v15, v17
	v_xor_b32_e32 v17, 4, v79
	v_sub_u32_e32 v18, v17, v18
	scratch_store_dword off, v20, off offset:1060 ; 4-byte Folded Spill
	v_lshl_add_u32 v20, v18, 4, v19
	v_xor_b32_e32 v18, 5, v79
	v_sub_u32_e32 v17, v18, v17
	s_waitcnt vmcnt(18)
	ds_write_b128 v15, v[64:67] offset:28800
	v_add_u32_e32 v15, v15, v20
	v_lshl_add_u32 v17, v17, 4, v19
	s_waitcnt vmcnt(17)
	ds_write_b128 v15, v[68:71] offset:28800
	v_add_u32_e32 v15, v15, v17
	s_waitcnt vmcnt(16)
	ds_write_b128 v15, v[10:13] offset:28800
	v_xor_b32_e32 v10, 6, v79
	v_sub_u32_e32 v11, v10, v18
	v_lshl_add_u32 v12, v11, 4, v19
	v_add_u32_e32 v11, v15, v12
	s_waitcnt vmcnt(15)
	ds_write_b128 v11, v[6:9] offset:28800
	v_xor_b32_e32 v6, 7, v79
	v_sub_u32_e32 v7, v6, v10
	v_add3_u32 v16, v16, v20, v17
	v_lshl_add_u32 v7, v7, 4, v19
	v_add3_u32 v8, v16, v12, v7
	scratch_store_dword off, v20, off offset:1068 ; 4-byte Folded Spill
	scratch_store_dword off, v17, off offset:1072 ; 4-byte Folded Spill
	;; [unrolled: 1-line block ×5, first 2 shown]
	v_add_u32_e32 v7, v11, v7
	s_waitcnt vmcnt(19)
	ds_write_b128 v7, v[2:5] offset:28800
	v_sub_u32_e32 v2, v79, v6
	v_mov_b32_e32 v3, 0xfffffc80
	v_lshl_add_u32 v2, v2, 4, v3
	scratch_store_dword off, v2, off offset:1084 ; 4-byte Folded Spill
	buffer_load_dwordx4 v[2:5], v74, s[0:3], 0 offen
	v_lshl_add_u32 v52, v28, 4, v30
	v_add_u32_e32 v30, v31, v30
	v_sub_u16_e32 v55, v0, v1
	v_xor_b32_sdwa v0, v80, sext(v55) dst_sel:DWORD dst_unused:UNUSED_PAD src0_sel:DWORD src1_sel:BYTE_0
	v_sub_u32_e32 v0, v0, v24
	v_lshlrev_b32_e32 v0, 4, v0
	s_waitcnt vmcnt(0)
	scratch_store_dwordx4 off, v[2:5], off offset:648 ; 16-byte Folded Spill
	s_nop 1
	v_add_u32_e32 v2, s23, v74
	buffer_load_dwordx4 v[4:7], v2, s[0:3], 0 offen
	v_add_u32_e32 v2, s23, v2
	s_waitcnt vmcnt(0)
	scratch_store_dwordx4 off, v[4:7], off offset:560 ; 16-byte Folded Spill
	buffer_load_dwordx4 v[4:7], v2, s[0:3], 0 offen
	v_add_u32_e32 v2, s23, v2
	s_waitcnt vmcnt(0)
	scratch_store_dwordx4 off, v[4:7], off offset:528 ; 16-byte Folded Spill
	;; [unrolled: 4-line block ×4, first 2 shown]
	buffer_load_dwordx4 v[4:7], v2, s[0:3], 0 offen
	v_add_u32_e32 v2, s23, v2
                                        ; kill: killed $vgpr2
	s_waitcnt vmcnt(0)
	scratch_store_dwordx4 off, v[4:7], off offset:348 ; 16-byte Folded Spill
	buffer_load_dwordx4 v[4:7], v2, s[0:3], 0 offen
	v_add_u32_e32 v2, s24, v75
	s_waitcnt vmcnt(0)
	scratch_store_dwordx4 off, v[4:7], off offset:364 ; 16-byte Folded Spill
	buffer_load_dwordx4 v[4:7], v75, s[4:7], 0 offen
	s_waitcnt vmcnt(0)
	scratch_store_dwordx4 off, v[4:7], off offset:380 ; 16-byte Folded Spill
	buffer_load_dwordx4 v[4:7], v2, s[4:7], 0 offen
	v_add_u32_e32 v2, s24, v2
	s_waitcnt vmcnt(0)
	scratch_store_dwordx4 off, v[4:7], off offset:396 ; 16-byte Folded Spill
	buffer_load_dwordx4 v[4:7], v2, s[4:7], 0 offen
	v_add_u32_e32 v2, s24, v2
	;; [unrolled: 4-line block ×6, first 2 shown]
	s_waitcnt vmcnt(0)
	scratch_store_dwordx4 off, v[4:7], off offset:460 ; 16-byte Folded Spill
	buffer_load_dwordx4 v[2:5], v2, s[4:7], 0 offen
	s_waitcnt vmcnt(0)
	scratch_store_dwordx4 off, v[2:5], off offset:476 ; 16-byte Folded Spill
	s_waitcnt lgkmcnt(0)
	s_barrier
	ds_read_b128 v[146:149], v52
	s_waitcnt lgkmcnt(0)
	v_lshrrev_b32_e32 v2, 16, v146
	scratch_store_dword off, v2, off offset:804 ; 4-byte Folded Spill
	v_lshrrev_b32_e32 v2, 24, v146
	scratch_store_dword off, v2, off offset:808 ; 4-byte Folded Spill
	;; [unrolled: 2-line block ×8, first 2 shown]
	v_add_u16_e32 v2, 32, v14
	v_ashrrev_i16_e32 v3, 15, v2
	v_lshrrev_b16_e32 v3, 13, v3
	v_add_u16_e32 v3, v2, v3
	v_and_b32_e32 v3, -8, v3
	v_sub_u16_e32 v46, v2, v3
	v_xor_b32_sdwa v2, v80, sext(v46) dst_sel:DWORD dst_unused:UNUSED_PAD src0_sel:DWORD src1_sel:WORD_0
	v_sub_u32_e32 v2, v2, v28
	v_lshlrev_b32_e32 v2, 4, v2
	v_add_u32_e32 v2, v52, v2
	ds_read_b128 v[138:141], v2 offset:4096
	scratch_store_dword off, v2, off offset:1092 ; 4-byte Folded Spill
	v_lshrrev_b32_e32 v48, 8, v146
	v_lshrrev_b32_e32 v49, 8, v147
	;; [unrolled: 1-line block ×3, first 2 shown]
	s_waitcnt lgkmcnt(0)
	v_lshrrev_b32_e32 v2, 8, v138
	scratch_store_dword off, v2, off offset:864 ; 4-byte Folded Spill
	v_lshrrev_b32_e32 v2, 16, v138
	scratch_store_dword off, v2, off offset:736 ; 4-byte Folded Spill
	;; [unrolled: 2-line block ×12, first 2 shown]
	v_xor_b32_e32 v2, v80, v79
	v_sub_u32_e32 v3, v2, v28
	v_lshl_add_u32 v3, v3, 4, v52
	ds_read_b128 v[134:137], v3 offset:8192
	ds_read_b128 v[126:129], v3 offset:12288
	;; [unrolled: 1-line block ×4, first 2 shown]
	v_lshrrev_b32_e32 v37, 8, v149
	s_waitcnt lgkmcnt(3)
	v_lshrrev_b32_e32 v4, 8, v134
	scratch_store_dword off, v4, off offset:880 ; 4-byte Folded Spill
	v_lshrrev_b32_e32 v4, 16, v134
	scratch_store_dword off, v4, off offset:760 ; 4-byte Folded Spill
	v_lshrrev_b32_e32 v4, 24, v134
	scratch_store_dword off, v4, off offset:768 ; 4-byte Folded Spill
	v_lshrrev_b32_e32 v4, 8, v135
	scratch_store_dword off, v4, off offset:892 ; 4-byte Folded Spill
	v_lshrrev_b32_e32 v4, 16, v135
	scratch_store_dword off, v4, off offset:780 ; 4-byte Folded Spill
	v_lshrrev_b32_e32 v4, 24, v135
	scratch_store_dword off, v4, off offset:788 ; 4-byte Folded Spill
	v_lshrrev_b32_e32 v4, 8, v136
	scratch_store_dword off, v4, off offset:876 ; 4-byte Folded Spill
	v_lshrrev_b32_e32 v4, 16, v136
	scratch_store_dword off, v4, off offset:764 ; 4-byte Folded Spill
	v_lshrrev_b32_e32 v4, 24, v136
	scratch_store_dword off, v4, off offset:776 ; 4-byte Folded Spill
	v_lshrrev_b32_e32 v4, 8, v137
	scratch_store_dword off, v4, off offset:888 ; 4-byte Folded Spill
	v_lshrrev_b32_e32 v4, 16, v137
	scratch_store_dword off, v4, off offset:784 ; 4-byte Folded Spill
	v_lshrrev_b32_e32 v4, 24, v137
	scratch_store_dword off, v4, off offset:792 ; 4-byte Folded Spill
	s_waitcnt lgkmcnt(2)
	v_lshrrev_b32_e32 v4, 8, v126
	scratch_store_dword off, v4, off offset:884 ; 4-byte Folded Spill
	v_lshrrev_b32_e32 v4, 16, v126
	scratch_store_dword off, v4, off offset:636 ; 4-byte Folded Spill
	v_lshrrev_b32_e32 v4, 24, v126
	scratch_store_dword off, v4, off offset:644 ; 4-byte Folded Spill
	v_lshrrev_b32_e32 v4, 8, v127
	scratch_store_dword off, v4, off offset:896 ; 4-byte Folded Spill
	v_lshrrev_b32_e32 v4, 16, v127
	scratch_store_dword off, v4, off offset:668 ; 4-byte Folded Spill
	v_lshrrev_b32_e32 v4, 24, v127
	scratch_store_dword off, v4, off offset:692 ; 4-byte Folded Spill
	v_lshrrev_b32_e32 v4, 8, v128
	scratch_store_dword off, v4, off offset:900 ; 4-byte Folded Spill
	v_lshrrev_b32_e32 v4, 16, v128
	scratch_store_dword off, v4, off offset:640 ; 4-byte Folded Spill
	v_lshrrev_b32_e32 v4, 24, v128
	scratch_store_dword off, v4, off offset:664 ; 4-byte Folded Spill
	v_lshrrev_b32_e32 v4, 8, v129
	scratch_store_dword off, v4, off offset:904 ; 4-byte Folded Spill
	v_lshrrev_b32_e32 v4, 16, v129
	scratch_store_dword off, v4, off offset:676 ; 4-byte Folded Spill
	v_lshrrev_b32_e32 v4, 24, v129
	scratch_store_dword off, v4, off offset:700 ; 4-byte Folded Spill
	;; [unrolled: 25-line block ×4, first 2 shown]
	scratch_store_dword off, v3, off offset:1096 ; 4-byte Folded Spill
	ds_read_b128 v[86:89], v3 offset:24576
	scratch_store_dword off, v30, off offset:1108 ; 4-byte Folded Spill
	ds_read_b128 v[106:109], v30
	v_xor_b32_sdwa v30, v90, sext(v46) dst_sel:DWORD dst_unused:UNUSED_PAD src0_sel:DWORD src1_sel:WORD_0
	v_sub_u32_e32 v30, v30, v28
	v_sub_u32_e32 v28, v29, v28
	v_lshl_add_u32 v28, v28, 4, v52
	ds_read_b128 v[82:85], v28 offset:8192
	s_waitcnt lgkmcnt(2)
	v_lshrrev_b32_e32 v3, 8, v86
	scratch_store_dword off, v3, off offset:836 ; 4-byte Folded Spill
	v_lshrrev_b32_e32 v3, 16, v86
	scratch_store_dword off, v3, off offset:252 ; 4-byte Folded Spill
	;; [unrolled: 2-line block ×12, first 2 shown]
	v_lshl_add_u32 v3, v24, 4, v25
	v_add_u32_e32 v56, 0x7000, v3
	v_add_u32_e32 v0, v56, v0
	ds_read_b128 v[178:181], v3 offset:28672
	ds_read_b128 v[174:177], v0 offset:4096
	v_lshlrev_b32_e32 v30, 4, v30
	v_add_u32_e32 v30, v52, v30
	ds_read_b128 v[74:77], v30 offset:4096
	ds_read_b128 v[62:65], v28 offset:20480
	s_waitcnt lgkmcnt(2)
	v_lshrrev_b32_e32 v1, 16, v176
	scratch_store_dword off, v1, off offset:1012 ; 4-byte Folded Spill
	v_lshrrev_b32_e32 v1, 24, v176
	scratch_store_dword off, v1, off offset:1016 ; 4-byte Folded Spill
	v_lshrrev_b32_e32 v1, 16, v177
	v_accvgpr_write_b32 a254, v1
	v_lshrrev_b32_e32 v1, 24, v177
	v_accvgpr_write_b32 a253, v1
	v_sub_u32_e32 v1, v2, v24
	v_lshl_add_u32 v2, v1, 4, v56
	ds_read_b128 v[154:157], v2 offset:24576
	ds_read_b128 v[150:153], v2 offset:28672
	;; [unrolled: 1-line block ×4, first 2 shown]
	v_lshrrev_b32_e32 v3, 8, v178
	scratch_store_dword off, v3, off offset:1008 ; 4-byte Folded Spill
	s_waitcnt lgkmcnt(2)
	v_lshrrev_b32_e32 v27, 16, v153
	v_accvgpr_write_b32 a243, v27
	v_lshrrev_b32_e32 v27, 24, v153
	v_accvgpr_write_b32 a225, v27
	;; [unrolled: 2-line block ×3, first 2 shown]
	v_lshrrev_b32_e32 v27, 16, v106
	scratch_store_dword off, v27, off offset:236 ; 4-byte Folded Spill
	v_lshrrev_b32_e32 v27, 24, v106
	scratch_store_dword off, v27, off offset:220 ; 4-byte Folded Spill
	v_lshrrev_b32_e32 v27, 8, v107
	v_accvgpr_write_b32 a244, v27
	v_lshrrev_b32_e32 v27, 16, v107
	scratch_store_dword off, v27, off offset:224 ; 4-byte Folded Spill
	v_lshrrev_b32_e32 v27, 24, v107
	scratch_store_dword off, v27, off offset:228 ; 4-byte Folded Spill
	v_lshrrev_b32_e32 v27, 8, v108
	v_accvgpr_write_b32 a238, v27
	;; [unrolled: 6-line block ×3, first 2 shown]
	v_lshrrev_b32_e32 v27, 16, v109
	scratch_store_dword off, v27, off offset:232 ; 4-byte Folded Spill
	v_lshrrev_b32_e32 v27, 24, v109
	scratch_store_dword off, v27, off offset:208 ; 4-byte Folded Spill
	;; [unrolled: 2-line block ×26, first 2 shown]
	s_waitcnt lgkmcnt(1)
	v_lshrrev_b32_e32 v27, 8, v78
	scratch_store_dword off, v27, off offset:704 ; 4-byte Folded Spill
	v_lshrrev_b32_e32 v27, 16, v78
	scratch_store_dword off, v27, off offset:48 ; 4-byte Folded Spill
	;; [unrolled: 2-line block ×12, first 2 shown]
	s_waitcnt lgkmcnt(0)
	v_lshrrev_b32_e32 v27, 8, v66
	scratch_store_dword off, v27, off offset:820 ; 4-byte Folded Spill
	v_lshrrev_b32_e32 v27, 16, v66
	scratch_store_dword off, v27, off offset:40 ; 4-byte Folded Spill
	;; [unrolled: 2-line block ×15, first 2 shown]
	v_lshrrev_b32_e32 v27, 8, v63
	v_lshrrev_b32_e32 v3, 16, v178
	scratch_store_dword off, v27, off offset:684 ; 4-byte Folded Spill
	v_lshrrev_b32_e32 v27, 16, v63
	scratch_store_dword off, v3, off offset:948 ; 4-byte Folded Spill
	;; [unrolled: 2-line block ×8, first 2 shown]
	v_lshrrev_b32_e32 v3, 16, v180
	scratch_store_dword off, v27, off       ; 4-byte Folded Spill
	v_lshrrev_b32_e32 v27, 24, v64
	scratch_store_dword off, v3, off offset:976 ; 4-byte Folded Spill
	v_lshrrev_b32_e32 v3, 24, v180
	scratch_store_dword off, v0, off offset:1100 ; 4-byte Folded Spill
	;; [unrolled: 2-line block ×10, first 2 shown]
	scratch_store_dword off, v0, off offset:1020 ; 4-byte Folded Spill
	ds_read_b128 v[170:173], v2 offset:8192
	ds_read_b128 v[166:169], v2 offset:12288
	;; [unrolled: 1-line block ×4, first 2 shown]
	scratch_store_dword off, v2, off offset:1104 ; 4-byte Folded Spill
	scratch_store_dword off, v30, off offset:1112 ; 4-byte Folded Spill
	;; [unrolled: 1-line block ×5, first 2 shown]
	v_add_u32_e32 v25, v26, v25
	ds_read_b128 v[122:125], v25 offset:28672
	scratch_store_dword off, v25, off offset:1120 ; 4-byte Folded Spill
	ds_read_b128 v[70:73], v28 offset:24576
	s_waitcnt lgkmcnt(5)
	v_lshrrev_b32_e32 v3, 16, v172
	v_accvgpr_write_b32 a252, v3
	s_waitcnt lgkmcnt(1)
	v_lshrrev_b32_e32 v25, 16, v122
	scratch_store_dword off, v25, off offset:332 ; 4-byte Folded Spill
	v_lshrrev_b32_e32 v25, 24, v122
	scratch_store_dword off, v25, off offset:336 ; 4-byte Folded Spill
	;; [unrolled: 2-line block ×6, first 2 shown]
	v_xor_b32_sdwa v25, v90, sext(v55) dst_sel:DWORD dst_unused:UNUSED_PAD src0_sel:DWORD src1_sel:BYTE_0
	v_sub_u32_e32 v25, v25, v24
	v_lshlrev_b32_e32 v25, 4, v25
	v_sub_u32_e32 v24, v29, v24
	v_add_u32_e32 v25, v56, v25
	ds_read_b128 v[114:117], v25 offset:4096
	v_lshl_add_u32 v55, v24, 4, v56
	s_waitcnt lgkmcnt(1)
	v_lshrrev_b32_e32 v27, 8, v70
	ds_read_b128 v[98:101], v55 offset:16384
	ds_read_b128 v[90:93], v55 offset:20480
	scratch_store_dword off, v27, off offset:988 ; 4-byte Folded Spill
	v_lshrrev_b32_e32 v27, 16, v70
	v_lshrrev_b32_e32 v3, 24, v172
	scratch_store_dword off, v27, off offset:136 ; 4-byte Folded Spill
	v_lshrrev_b32_e32 v27, 24, v70
	v_accvgpr_write_b32 a239, v3
	v_lshrrev_b32_e32 v3, 16, v173
	scratch_store_dword off, v27, off offset:176 ; 4-byte Folded Spill
	v_lshrrev_b32_e32 v27, 8, v71
	v_accvgpr_write_b32 a242, v3
	v_lshrrev_b32_e32 v3, 24, v173
	v_lshrrev_b32_e32 v11, 16, v156
	scratch_store_dword off, v27, off offset:1004 ; 4-byte Folded Spill
	v_lshrrev_b32_e32 v27, 16, v71
	v_accvgpr_write_b32 a246, v3
	v_lshrrev_b32_e32 v3, 16, v166
	v_accvgpr_write_b32 a227, v11
	v_lshrrev_b32_e32 v11, 24, v156
	scratch_store_dword off, v27, off offset:148 ; 4-byte Folded Spill
	v_lshrrev_b32_e32 v27, 24, v71
	s_waitcnt lgkmcnt(1)
	v_lshrrev_b32_e32 v44, 16, v100
	ds_read_b128 v[94:97], v55 offset:24576
	ds_read_b128 v[102:105], v55 offset:28672
	v_accvgpr_write_b32 a230, v3
	v_lshrrev_b32_e32 v3, 24, v166
	v_accvgpr_write_b32 a237, v11
	v_lshrrev_b32_e32 v11, 16, v157
	scratch_store_dword off, v27, off offset:172 ; 4-byte Folded Spill
	v_lshrrev_b32_e32 v27, 8, v72
	scratch_store_dword off, v44, off offset:288 ; 4-byte Folded Spill
	s_waitcnt lgkmcnt(2)
	v_lshrrev_b32_e32 v44, 16, v90
	v_accvgpr_write_b32 a233, v3
	v_lshrrev_b32_e32 v3, 16, v167
	v_accvgpr_write_b32 a247, v11
	v_lshrrev_b32_e32 v11, 24, v157
	scratch_store_dword off, v27, off offset:928 ; 4-byte Folded Spill
	v_lshrrev_b32_e32 v27, 16, v72
	scratch_store_dword off, v25, off offset:1124 ; 4-byte Folded Spill
	v_lshrrev_b32_e32 v25, 16, v114
	ds_read_b128 v[142:145], v55 offset:8192
	ds_read_b128 v[130:133], v55 offset:12288
	scratch_store_dword off, v44, off offset:280 ; 4-byte Folded Spill
	v_lshrrev_b32_e32 v44, 16, v91
	v_accvgpr_write_b32 a251, v3
	v_lshrrev_b32_e32 v3, 24, v167
	v_accvgpr_write_b32 a224, v11
	v_lshrrev_b32_e32 v11, 16, v151
	scratch_store_dword off, v27, off offset:76 ; 4-byte Folded Spill
	v_lshrrev_b32_e32 v27, 24, v72
	scratch_store_dword off, v25, off offset:312 ; 4-byte Folded Spill
	;; [unrolled: 2-line block ×3, first 2 shown]
	v_lshrrev_b32_e32 v44, 16, v92
	v_lshrrev_b32_e32 v1, 16, v170
	v_accvgpr_write_b32 a226, v3
	v_lshrrev_b32_e32 v3, 16, v154
	v_accvgpr_write_b32 a236, v11
	v_lshrrev_b32_e32 v11, 24, v151
	scratch_store_dword off, v27, off offset:88 ; 4-byte Folded Spill
	v_lshrrev_b32_e32 v27, 8, v73
	scratch_store_dword off, v25, off offset:316 ; 4-byte Folded Spill
	;; [unrolled: 2-line block ×3, first 2 shown]
	v_lshrrev_b32_e32 v44, 16, v93
	v_accvgpr_write_b32 a255, v1
	v_lshrrev_b32_e32 v1, 24, v170
	v_accvgpr_write_b32 a248, v3
	v_lshrrev_b32_e32 v3, 24, v154
	v_lshrrev_b32_e32 v2, 16, v150
	v_accvgpr_write_b32 a245, v11
	v_lshrrev_b32_e32 v11, 16, v152
	scratch_store_dword off, v27, off offset:932 ; 4-byte Folded Spill
	v_lshrrev_b32_e32 v27, 16, v73
	scratch_store_dword off, v25, off offset:328 ; 4-byte Folded Spill
	;; [unrolled: 2-line block ×3, first 2 shown]
	s_waitcnt lgkmcnt(3)
	v_lshrrev_b32_e32 v44, 16, v94
	v_accvgpr_write_b32 a231, v1
	v_lshrrev_b32_e32 v1, 16, v171
	v_accvgpr_write_b32 a228, v3
	;; [unrolled: 2-line block ×4, first 2 shown]
	v_lshrrev_b32_e32 v11, 24, v152
	scratch_store_dword off, v27, off offset:100 ; 4-byte Folded Spill
	v_lshrrev_b32_e32 v27, 24, v73
	scratch_store_dword off, v25, off offset:324 ; 4-byte Folded Spill
	;; [unrolled: 2-line block ×3, first 2 shown]
	v_lshrrev_b32_e32 v44, 16, v95
	v_lshrrev_b32_e32 v45, 16, v96
	;; [unrolled: 1-line block ×13, first 2 shown]
	v_accvgpr_write_b32 a249, v1
	v_lshrrev_b32_e32 v1, 24, v171
	v_lshrrev_b32_e32 v13, 8, v172
	;; [unrolled: 1-line block ×37, first 2 shown]
	v_accvgpr_write_b32 a229, v3
	v_lshrrev_b32_e32 v43, 24, v155
	v_lshrrev_b32_e32 v3, 8, v156
	v_lshrrev_b32_e32 v50, 8, v157
	v_lshrrev_b32_e32 v225, 8, v150
	v_accvgpr_write_b32 a232, v2
	v_lshrrev_b32_e32 v2, 8, v151
	v_lshrrev_b32_e32 v183, 8, v152
	v_accvgpr_write_b32 a234, v11
	v_lshrrev_b32_e32 v11, 8, v153
	scratch_store_dword off, v27, off offset:112 ; 4-byte Folded Spill
	v_lshrrev_b32_e32 v216, 8, v122
	v_lshrrev_b32_e32 v209, 8, v123
	;; [unrolled: 1-line block ×9, first 2 shown]
	scratch_store_dword off, v25, off offset:304 ; 4-byte Folded Spill
	v_lshrrev_b32_e32 v27, 24, v116
	v_lshrrev_b32_e32 v233, 8, v117
	v_lshrrev_b32_e32 v26, 16, v117
	v_lshrrev_b32_e32 v25, 24, v117
	s_waitcnt lgkmcnt(1)
	v_lshrrev_b32_e32 v211, 8, v142
	v_lshrrev_b32_e32 v196, 16, v142
	;; [unrolled: 1-line block ×12, first 2 shown]
	s_waitcnt lgkmcnt(0)
	v_lshrrev_b32_e32 v231, 8, v130
	v_lshrrev_b32_e32 v193, 16, v130
	;; [unrolled: 1-line block ×34, first 2 shown]
	scratch_store_dword off, v44, off offset:276 ; 4-byte Folded Spill
	v_lshrrev_b32_e32 v241, 24, v95
	v_lshrrev_b32_e32 v44, 8, v96
	scratch_store_dword off, v45, off offset:240 ; 4-byte Folded Spill
	v_lshrrev_b32_e32 v45, 24, v96
	v_lshrrev_b32_e32 v238, 8, v97
	;; [unrolled: 3-line block ×3, first 2 shown]
	v_lshrrev_b32_e32 v246, 16, v102
	v_lshrrev_b32_e32 v223, 24, v102
	;; [unrolled: 1-line block ×11, first 2 shown]
	scratch_store_dword off, v56, off offset:1128 ; 4-byte Folded Spill
	scratch_store_dword off, v55, off offset:1132 ; 4-byte Folded Spill
	; sched_barrier mask(0x00000000)
	v_accvgpr_read_b32 v56, a2
	s_add_i32 s16, s16, -1
	v_add_u32_e32 v55, 0x100, v56
	v_accvgpr_read_b32 v56, a0
	s_max_i32 s16, s16, 1
	v_add_u32_e32 v56, 0x100, v56
	v_accvgpr_write_b32 a159, 0
	v_accvgpr_write_b32 a158, 0
	v_accvgpr_write_b32 a157, 0
	v_accvgpr_write_b32 a156, 0
	v_accvgpr_write_b32 a155, 0
	v_accvgpr_write_b32 a154, 0
	v_accvgpr_write_b32 a153, 0
	v_accvgpr_write_b32 a152, 0
	v_accvgpr_write_b32 a151, 0
	v_accvgpr_write_b32 a150, 0
	v_accvgpr_write_b32 a149, 0
	v_accvgpr_write_b32 a148, 0
	v_accvgpr_write_b32 a147, 0
	v_accvgpr_write_b32 a146, 0
	v_accvgpr_write_b32 a145, 0
	v_accvgpr_write_b32 a144, 0
	v_accvgpr_write_b32 a143, 0
	v_accvgpr_write_b32 a142, 0
	v_accvgpr_write_b32 a141, 0
	v_accvgpr_write_b32 a140, 0
	v_accvgpr_write_b32 a139, 0
	v_accvgpr_write_b32 a138, 0
	v_accvgpr_write_b32 a137, 0
	v_accvgpr_write_b32 a136, 0
	v_accvgpr_write_b32 a135, 0
	v_accvgpr_write_b32 a134, 0
	v_accvgpr_write_b32 a133, 0
	v_accvgpr_write_b32 a132, 0
	v_accvgpr_write_b32 a131, 0
	v_accvgpr_write_b32 a130, 0
	v_accvgpr_write_b32 a129, 0
	v_accvgpr_write_b32 a128, 0
	v_accvgpr_write_b32 a91, 0
	v_accvgpr_write_b32 a90, 0
	v_accvgpr_write_b32 a89, 0
	v_accvgpr_write_b32 a88, 0
	v_accvgpr_write_b32 a87, 0
	v_accvgpr_write_b32 a86, 0
	v_accvgpr_write_b32 a85, 0
	v_accvgpr_write_b32 a84, 0
	v_accvgpr_write_b32 a119, 0
	v_accvgpr_write_b32 a118, 0
	v_accvgpr_write_b32 a117, 0
	v_accvgpr_write_b32 a116, 0
	v_accvgpr_write_b32 a115, 0
	v_accvgpr_write_b32 a114, 0
	v_accvgpr_write_b32 a113, 0
	v_accvgpr_write_b32 a112, 0
	v_accvgpr_write_b32 a103, 0
	v_accvgpr_write_b32 a102, 0
	v_accvgpr_write_b32 a101, 0
	v_accvgpr_write_b32 a100, 0
	v_accvgpr_write_b32 a99, 0
	v_accvgpr_write_b32 a98, 0
	v_accvgpr_write_b32 a97, 0
	v_accvgpr_write_b32 a96, 0
	v_accvgpr_write_b32 a95, 0
	v_accvgpr_write_b32 a94, 0
	v_accvgpr_write_b32 a93, 0
	v_accvgpr_write_b32 a92, 0
	v_accvgpr_write_b32 a83, 0
	v_accvgpr_write_b32 a82, 0
	v_accvgpr_write_b32 a81, 0
	v_accvgpr_write_b32 a80, 0
	v_accvgpr_write_b32 a71, 0
	v_accvgpr_write_b32 a70, 0
	v_accvgpr_write_b32 a69, 0
	v_accvgpr_write_b32 a68, 0
	v_accvgpr_write_b32 a67, 0
	v_accvgpr_write_b32 a66, 0
	v_accvgpr_write_b32 a65, 0
	v_accvgpr_write_b32 a64, 0
	v_accvgpr_write_b32 a63, 0
	v_accvgpr_write_b32 a62, 0
	v_accvgpr_write_b32 a61, 0
	v_accvgpr_write_b32 a60, 0
	v_accvgpr_write_b32 a55, 0
	v_accvgpr_write_b32 a54, 0
	v_accvgpr_write_b32 a53, 0
	v_accvgpr_write_b32 a52, 0
	v_accvgpr_write_b32 a51, 0
	v_accvgpr_write_b32 a50, 0
	v_accvgpr_write_b32 a49, 0
	v_accvgpr_write_b32 a48, 0
	v_accvgpr_write_b32 a47, 0
	v_accvgpr_write_b32 a46, 0
	v_accvgpr_write_b32 a45, 0
	v_accvgpr_write_b32 a44, 0
	v_accvgpr_write_b32 a59, 0
	v_accvgpr_write_b32 a58, 0
	v_accvgpr_write_b32 a57, 0
	v_accvgpr_write_b32 a56, 0
	v_accvgpr_write_b32 a43, 0
	v_accvgpr_write_b32 a42, 0
	v_accvgpr_write_b32 a41, 0
	v_accvgpr_write_b32 a40, 0
	v_accvgpr_write_b32 a31, 0
	v_accvgpr_write_b32 a30, 0
	v_accvgpr_write_b32 a29, 0
	v_accvgpr_write_b32 a28, 0
	v_accvgpr_write_b32 a35, 0
	v_accvgpr_write_b32 a34, 0
	v_accvgpr_write_b32 a33, 0
	v_accvgpr_write_b32 a32, 0
	v_accvgpr_write_b32 a107, 0
	v_accvgpr_write_b32 a106, 0
	v_accvgpr_write_b32 a105, 0
	v_accvgpr_write_b32 a104, 0
	v_accvgpr_write_b32 a111, 0
	v_accvgpr_write_b32 a110, 0
	v_accvgpr_write_b32 a109, 0
	v_accvgpr_write_b32 a108, 0
	v_accvgpr_write_b32 a123, 0
	v_accvgpr_write_b32 a122, 0
	v_accvgpr_write_b32 a121, 0
	v_accvgpr_write_b32 a120, 0
	v_accvgpr_write_b32 a127, 0
	v_accvgpr_write_b32 a126, 0
	v_accvgpr_write_b32 a125, 0
	v_accvgpr_write_b32 a124, 0
	v_accvgpr_write_b32 a79, 0
	v_accvgpr_write_b32 a78, 0
	v_accvgpr_write_b32 a77, 0
	v_accvgpr_write_b32 a76, 0
	v_accvgpr_write_b32 a75, 0
	v_accvgpr_write_b32 a74, 0
	v_accvgpr_write_b32 a73, 0
	v_accvgpr_write_b32 a72, 0
	v_accvgpr_write_b32 a39, 0
	v_accvgpr_write_b32 a38, 0
	v_accvgpr_write_b32 a37, 0
	v_accvgpr_write_b32 a36, 0
	v_accvgpr_write_b32 a171, 0
	v_accvgpr_write_b32 a170, 0
	v_accvgpr_write_b32 a169, 0
	v_accvgpr_write_b32 a168, 0
	v_accvgpr_write_b32 a175, 0
	v_accvgpr_write_b32 a174, 0
	v_accvgpr_write_b32 a173, 0
	v_accvgpr_write_b32 a172, 0
	v_accvgpr_write_b32 a195, 0
	v_accvgpr_write_b32 a194, 0
	v_accvgpr_write_b32 a193, 0
	v_accvgpr_write_b32 a192, 0
	v_accvgpr_write_b32 a183, 0
	v_accvgpr_write_b32 a182, 0
	v_accvgpr_write_b32 a181, 0
	v_accvgpr_write_b32 a180, 0
	v_accvgpr_write_b32 a187, 0
	v_accvgpr_write_b32 a186, 0
	v_accvgpr_write_b32 a185, 0
	v_accvgpr_write_b32 a184, 0
	v_accvgpr_write_b32 a191, 0
	v_accvgpr_write_b32 a190, 0
	v_accvgpr_write_b32 a189, 0
	v_accvgpr_write_b32 a188, 0
	v_accvgpr_write_b32 a179, 0
	v_accvgpr_write_b32 a178, 0
	v_accvgpr_write_b32 a177, 0
	v_accvgpr_write_b32 a176, 0
	v_accvgpr_write_b32 a163, 0
	v_accvgpr_write_b32 a162, 0
	v_accvgpr_write_b32 a161, 0
	v_accvgpr_write_b32 a160, 0
	v_accvgpr_write_b32 a167, 0
	v_accvgpr_write_b32 a166, 0
	v_accvgpr_write_b32 a165, 0
	v_accvgpr_write_b32 a164, 0
	v_accvgpr_write_b32 a199, 0
	v_accvgpr_write_b32 a198, 0
	v_accvgpr_write_b32 a197, 0
	v_accvgpr_write_b32 a196, 0
	v_accvgpr_write_b32 a203, 0
	v_accvgpr_write_b32 a202, 0
	v_accvgpr_write_b32 a201, 0
	v_accvgpr_write_b32 a200, 0
	v_accvgpr_write_b32 a211, 0
	v_accvgpr_write_b32 a210, 0
	v_accvgpr_write_b32 a209, 0
	v_accvgpr_write_b32 a208, 0
	v_accvgpr_write_b32 a215, 0
	v_accvgpr_write_b32 a214, 0
	v_accvgpr_write_b32 a213, 0
	v_accvgpr_write_b32 a212, 0
	v_accvgpr_write_b32 a219, 0
	v_accvgpr_write_b32 a218, 0
	v_accvgpr_write_b32 a217, 0
	v_accvgpr_write_b32 a216, 0
	v_accvgpr_write_b32 a223, 0
	v_accvgpr_write_b32 a222, 0
	v_accvgpr_write_b32 a221, 0
	v_accvgpr_write_b32 a220, 0
	v_accvgpr_write_b32 a207, 0
	v_accvgpr_write_b32 a206, 0
	v_accvgpr_write_b32 a205, 0
	v_accvgpr_write_b32 a204, 0
	v_accvgpr_write_b32 a27, 0
	v_accvgpr_write_b32 a26, 0
	v_accvgpr_write_b32 a25, 0
	v_accvgpr_write_b32 a24, 0
	v_accvgpr_write_b32 a23, 0
	v_accvgpr_write_b32 a22, 0
	v_accvgpr_write_b32 a21, 0
	v_accvgpr_write_b32 a20, 0
	v_accvgpr_write_b32 a19, 0
	v_accvgpr_write_b32 a18, 0
	v_accvgpr_write_b32 a17, 0
	v_accvgpr_write_b32 a16, 0
	v_accvgpr_write_b32 a15, 0
	v_accvgpr_write_b32 a14, 0
	v_accvgpr_write_b32 a13, 0
	v_accvgpr_write_b32 a12, 0
	v_accvgpr_write_b32 a11, 0
	v_accvgpr_write_b32 a10, 0
	v_accvgpr_write_b32 a9, 0
	v_accvgpr_write_b32 a8, 0
	v_accvgpr_write_b32 a3, 0
	v_accvgpr_write_b32 a2, 0
	v_accvgpr_write_b32 a1, 0
	v_accvgpr_write_b32 a0, 0
	v_accvgpr_write_b32 a7, 0
	v_accvgpr_write_b32 a6, 0
	v_accvgpr_write_b32 a5, 0
	v_accvgpr_write_b32 a4, 0
.LBB2_11:                               ; =>This Inner Loop Header: Depth=1
	v_lshlrev_b16_e32 v17, 8, v17
	v_lshlrev_b16_e32 v13, 8, v13
	;; [unrolled: 1-line block ×4, first 2 shown]
	v_or_b32_sdwa v17, v170, v17 dst_sel:DWORD dst_unused:UNUSED_PAD src0_sel:BYTE_0 src1_sel:DWORD
	v_or_b32_sdwa v170, v172, v13 dst_sel:DWORD dst_unused:UNUSED_PAD src0_sel:BYTE_0 src1_sel:DWORD
	v_lshlrev_b16_e32 v10, 8, v10
	v_lshlrev_b16_e32 v13, 8, v23
	v_or_b32_sdwa v167, v167, v12 dst_sel:DWORD dst_unused:UNUSED_PAD src0_sel:BYTE_0 src1_sel:DWORD
	v_or_b32_sdwa v168, v168, v8 dst_sel:DWORD dst_unused:UNUSED_PAD src0_sel:BYTE_0 src1_sel:DWORD
	v_lshlrev_b16_e32 v8, 8, v21
	v_lshlrev_b16_e32 v12, 8, v15
	;; [unrolled: 1-line block ×7, first 2 shown]
	v_or_b32_sdwa v166, v166, v10 dst_sel:DWORD dst_unused:UNUSED_PAD src0_sel:BYTE_0 src1_sel:DWORD
	v_or_b32_sdwa v169, v169, v13 dst_sel:DWORD dst_unused:UNUSED_PAD src0_sel:BYTE_0 src1_sel:DWORD
	v_lshlrev_b16_e32 v10, 8, v18
	v_lshlrev_b16_e32 v13, 8, v14
	v_or_b32_sdwa v14, v163, v8 dst_sel:DWORD dst_unused:UNUSED_PAD src0_sel:BYTE_0 src1_sel:DWORD
	v_or_b32_sdwa v18, v165, v12 dst_sel:DWORD dst_unused:UNUSED_PAD src0_sel:BYTE_0 src1_sel:DWORD
	v_or_b32_sdwa v163, v154, v4 dst_sel:DWORD dst_unused:UNUSED_PAD src0_sel:BYTE_0 src1_sel:DWORD
	v_or_b32_sdwa v165, v156, v3 dst_sel:DWORD dst_unused:UNUSED_PAD src0_sel:BYTE_0 src1_sel:DWORD
	v_lshlrev_b16_e32 v2, 8, v2
	v_lshlrev_b16_e32 v3, 8, v225
	v_lshlrev_b16_e32 v4, 8, v11
	v_or_b32_sdwa v49, v147, v49 dst_sel:DWORD dst_unused:UNUSED_PAD src0_sel:BYTE_0 src1_sel:DWORD
	scratch_load_dword v147, off, off offset:1008 ; 4-byte Folded Reload
	v_or_b32_sdwa v19, v171, v19 dst_sel:DWORD dst_unused:UNUSED_PAD src0_sel:BYTE_0 src1_sel:DWORD
	v_or_b32_sdwa v16, v173, v16 dst_sel:DWORD dst_unused:UNUSED_PAD src0_sel:BYTE_0 src1_sel:DWORD
	;; [unrolled: 1-line block ×5, first 2 shown]
	scratch_load_dword v2, off, off offset:872 ; 4-byte Folded Reload
	scratch_load_dword v3, off, off offset:864 ; 4-byte Folded Reload
	;; [unrolled: 1-line block ×3, first 2 shown]
	v_lshlrev_b16_e32 v48, 8, v48
	v_lshlrev_b16_e32 v5, 8, v5
	;; [unrolled: 1-line block ×4, first 2 shown]
	v_or_b32_sdwa v48, v146, v48 dst_sel:DWORD dst_unused:UNUSED_PAD src0_sel:BYTE_0 src1_sel:DWORD
	v_lshlrev_b16_e32 v146, 8, v206
	v_lshlrev_b16_e32 v20, 8, v20
	v_or_b32_sdwa v15, v162, v10 dst_sel:DWORD dst_unused:UNUSED_PAD src0_sel:BYTE_0 src1_sel:DWORD
	v_or_b32_sdwa v162, v155, v5 dst_sel:DWORD dst_unused:UNUSED_PAD src0_sel:BYTE_0 src1_sel:DWORD
	v_lshlrev_b16_e32 v5, 8, v183
	v_or_b32_sdwa v37, v149, v37 dst_sel:DWORD dst_unused:UNUSED_PAD src0_sel:BYTE_0 src1_sel:DWORD
	v_or_b32_sdwa v36, v148, v36 dst_sel:DWORD dst_unused:UNUSED_PAD src0_sel:BYTE_0 src1_sel:DWORD
	v_lshlrev_b16_e32 v148, 8, v210
	v_lshlrev_b16_e32 v149, 8, v207
	v_or_b32_sdwa v146, v179, v146 dst_sel:DWORD dst_unused:UNUSED_PAD src0_sel:BYTE_0 src1_sel:DWORD
	v_lshlrev_b16_e32 v179, 8, v35
	v_or_b32_sdwa v20, v176, v20 dst_sel:DWORD dst_unused:UNUSED_PAD src0_sel:BYTE_0 src1_sel:DWORD
	v_or_b32_sdwa v176, v152, v5 dst_sel:DWORD dst_unused:UNUSED_PAD src0_sel:BYTE_0 src1_sel:DWORD
	scratch_load_dword v5, off, off offset:860 ; 4-byte Folded Reload
	v_or_b32_sdwa v148, v181, v148 dst_sel:DWORD dst_unused:UNUSED_PAD src0_sel:BYTE_0 src1_sel:DWORD
	v_or_b32_sdwa v149, v180, v149 dst_sel:DWORD dst_unused:UNUSED_PAD src0_sel:BYTE_0 src1_sel:DWORD
	;; [unrolled: 1-line block ×3, first 2 shown]
	v_lshlrev_b16_e32 v7, 8, v7
	v_or_b32_sdwa v161, v161, v7 dst_sel:DWORD dst_unused:UNUSED_PAD src0_sel:BYTE_0 src1_sel:DWORD
	scratch_load_dword v7, off, off offset:920 ; 4-byte Folded Reload
	v_lshlrev_b16_e32 v6, 8, v6
	v_or_b32_sdwa v160, v160, v6 dst_sel:DWORD dst_unused:UNUSED_PAD src0_sel:BYTE_0 src1_sel:DWORD
	v_lshlrev_b16_e32 v6, 8, v50
	v_or_b32_sdwa v21, v164, v13 dst_sel:DWORD dst_unused:UNUSED_PAD src0_sel:BYTE_0 src1_sel:DWORD
	;; [unrolled: 2-line block ×3, first 2 shown]
	v_or_b32_sdwa v158, v158, v9 dst_sel:DWORD dst_unused:UNUSED_PAD src0_sel:BYTE_0 src1_sel:DWORD
	scratch_load_dword v11, off, off offset:944 ; 4-byte Folded Reload
	v_lshlrev_b16_e32 v8, 8, v42
	v_lshlrev_b16_e32 v22, 8, v22
	v_or_b32_sdwa v159, v159, v8 dst_sel:DWORD dst_unused:UNUSED_PAD src0_sel:BYTE_0 src1_sel:DWORD
	v_or_b32_sdwa v177, v177, v22 dst_sel:DWORD dst_unused:UNUSED_PAD src0_sel:BYTE_0 src1_sel:DWORD
	scratch_load_dword v35, off, off offset:804 ; 4-byte Folded Reload
	v_lshlrev_b16_e32 v30, 8, v30
	v_lshlrev_b16_e32 v24, 8, v24
	v_or_b32_sdwa v33, v33, v24 dst_sel:WORD_1 dst_unused:UNUSED_PAD src0_sel:BYTE_0 src1_sel:DWORD
	v_lshlrev_b16_e32 v24, 8, v184
	s_waitcnt vmcnt(7)
	v_lshlrev_b16_e32 v147, 8, v147
	v_or_b32_sdwa v178, v178, v147 dst_sel:DWORD dst_unused:UNUSED_PAD src0_sel:BYTE_0 src1_sel:DWORD
	v_lshlrev_b16_e32 v147, 8, v205
	v_or_b32_sdwa v175, v175, v147 dst_sel:DWORD dst_unused:UNUSED_PAD src0_sel:BYTE_0 src1_sel:DWORD
	s_waitcnt vmcnt(6)
	v_lshlrev_b16_e32 v2, 8, v2
	s_waitcnt vmcnt(5)
	v_lshlrev_b16_e32 v3, 8, v3
	;; [unrolled: 2-line block ×3, first 2 shown]
	v_or_b32_sdwa v179, v139, v2 dst_sel:DWORD dst_unused:UNUSED_PAD src0_sel:BYTE_0 src1_sel:DWORD
	v_or_b32_sdwa v180, v138, v3 dst_sel:DWORD dst_unused:UNUSED_PAD src0_sel:BYTE_0 src1_sel:DWORD
	;; [unrolled: 1-line block ×3, first 2 shown]
	scratch_load_dword v2, off, off offset:892 ; 4-byte Folded Reload
	scratch_load_dword v3, off, off offset:880 ; 4-byte Folded Reload
	;; [unrolled: 1-line block ×3, first 2 shown]
	s_waitcnt vmcnt(6)
	v_lshlrev_b16_e32 v5, 8, v5
	v_or_b32_sdwa v183, v140, v5 dst_sel:DWORD dst_unused:UNUSED_PAD src0_sel:BYTE_0 src1_sel:DWORD
	scratch_load_dword v5, off, off offset:876 ; 4-byte Folded Reload
	s_waitcnt vmcnt(6)
	v_lshlrev_b16_e32 v9, 8, v7
	scratch_load_dword v7, off, off offset:916 ; 4-byte Folded Reload
	s_waitcnt vmcnt(6)
	v_lshlrev_b16_e32 v22, 8, v11
	;; [unrolled: 3-line block ×3, first 2 shown]
	s_waitcnt vmcnt(4)
	v_lshlrev_b16_e32 v3, 8, v3
	s_waitcnt vmcnt(3)
	v_lshlrev_b16_e32 v4, 8, v4
	v_or_b32_sdwa v205, v135, v2 dst_sel:DWORD dst_unused:UNUSED_PAD src0_sel:BYTE_0 src1_sel:DWORD
	v_or_b32_sdwa v206, v134, v3 dst_sel:DWORD dst_unused:UNUSED_PAD src0_sel:BYTE_0 src1_sel:DWORD
	;; [unrolled: 1-line block ×3, first 2 shown]
	scratch_load_dword v2, off, off offset:896 ; 4-byte Folded Reload
	scratch_load_dword v3, off, off offset:884 ; 4-byte Folded Reload
	;; [unrolled: 1-line block ×3, first 2 shown]
	s_waitcnt vmcnt(5)
	v_lshlrev_b16_e32 v5, 8, v5
	v_or_b32_sdwa v210, v136, v5 dst_sel:DWORD dst_unused:UNUSED_PAD src0_sel:BYTE_0 src1_sel:DWORD
	s_waitcnt vmcnt(4)
	v_lshlrev_b16_e32 v10, 8, v7
	s_waitcnt vmcnt(3)
	v_lshlrev_b16_e32 v23, 8, v11
	;; [unrolled: 2-line block ×5, first 2 shown]
	scratch_load_dword v4, off, off offset:900 ; 4-byte Folded Reload
	v_or_b32_sdwa v13, v126, v3 dst_sel:DWORD dst_unused:UNUSED_PAD src0_sel:BYTE_0 src1_sel:DWORD
	s_waitcnt vmcnt(0)
	v_lshlrev_b16_e32 v6, 8, v4
	v_or_b32_sdwa v4, v127, v2 dst_sel:DWORD dst_unused:UNUSED_PAD src0_sel:BYTE_0 src1_sel:DWORD
	v_or_b32_sdwa v2, v129, v5 dst_sel:DWORD dst_unused:UNUSED_PAD src0_sel:BYTE_0 src1_sel:DWORD
	scratch_load_dword v5, off, off offset:912 ; 4-byte Folded Reload
	v_or_b32_sdwa v3, v128, v6 dst_sel:DWORD dst_unused:UNUSED_PAD src0_sel:BYTE_0 src1_sel:DWORD
	scratch_load_dword v6, off, off offset:908 ; 4-byte Folded Reload
	s_waitcnt vmcnt(1)
	v_lshlrev_b16_e32 v5, 8, v5
	v_or_b32_sdwa v8, v119, v5 dst_sel:DWORD dst_unused:UNUSED_PAD src0_sel:BYTE_0 src1_sel:DWORD
	s_waitcnt vmcnt(0)
	v_lshlrev_b16_e32 v6, 8, v6
	v_or_b32_sdwa v5, v121, v9 dst_sel:DWORD dst_unused:UNUSED_PAD src0_sel:BYTE_0 src1_sel:DWORD
	scratch_load_dword v9, off, off offset:936 ; 4-byte Folded Reload
	v_or_b32_sdwa v7, v118, v6 dst_sel:DWORD dst_unused:UNUSED_PAD src0_sel:BYTE_0 src1_sel:DWORD
	v_or_b32_sdwa v6, v120, v10 dst_sel:DWORD dst_unused:UNUSED_PAD src0_sel:BYTE_0 src1_sel:DWORD
	scratch_load_dword v10, off, off offset:924 ; 4-byte Folded Reload
	s_waitcnt vmcnt(1)
	v_lshlrev_b16_e32 v9, 8, v9
	v_or_b32_sdwa v11, v111, v9 dst_sel:DWORD dst_unused:UNUSED_PAD src0_sel:BYTE_0 src1_sel:DWORD
	v_or_b32_sdwa v9, v113, v22 dst_sel:DWORD dst_unused:UNUSED_PAD src0_sel:BYTE_0 src1_sel:DWORD
	s_waitcnt vmcnt(0)
	v_lshlrev_b16_e32 v10, 8, v10
	scratch_load_dword v22, off, off offset:848 ; 4-byte Folded Reload
	v_or_b32_sdwa v12, v110, v10 dst_sel:DWORD dst_unused:UNUSED_PAD src0_sel:BYTE_0 src1_sel:DWORD
	v_or_b32_sdwa v10, v112, v23 dst_sel:DWORD dst_unused:UNUSED_PAD src0_sel:BYTE_0 src1_sel:DWORD
	scratch_load_dword v23, off, off offset:844 ; 4-byte Folded Reload
	s_waitcnt vmcnt(1)
	v_lshlrev_b16_e32 v22, 8, v22
	s_waitcnt vmcnt(0)
	v_or_b32_sdwa v22, v23, v22 dst_sel:WORD_1 dst_unused:UNUSED_PAD src0_sel:BYTE_0 src1_sel:DWORD
	scratch_load_dword v23, off, off offset:808 ; 4-byte Folded Reload
	s_waitcnt vmcnt(0)
	v_lshlrev_b16_e32 v23, 8, v23
	v_or_b32_sdwa v110, v35, v23 dst_sel:WORD_1 dst_unused:UNUSED_PAD src0_sel:BYTE_0 src1_sel:DWORD
	scratch_load_dword v35, off, off offset:980 ; 4-byte Folded Reload
	v_or_b32_sdwa v23, v49, v22 dst_sel:DWORD dst_unused:UNUSED_PAD src0_sel:WORD_0 src1_sel:DWORD
	v_or_b32_sdwa v22, v48, v110 dst_sel:DWORD dst_unused:UNUSED_PAD src0_sel:WORD_0 src1_sel:DWORD
	s_waitcnt vmcnt(0)
	v_lshlrev_b16_e32 v48, 8, v35
	scratch_load_dword v35, off, off offset:972 ; 4-byte Folded Reload
	s_waitcnt vmcnt(0)
	v_or_b32_sdwa v48, v35, v48 dst_sel:WORD_1 dst_unused:UNUSED_PAD src0_sel:BYTE_0 src1_sel:DWORD
	scratch_load_dword v35, off, off offset:968 ; 4-byte Folded Reload
	v_or_b32_sdwa v147, v146, v48 dst_sel:DWORD dst_unused:UNUSED_PAD src0_sel:WORD_0 src1_sel:DWORD
	s_waitcnt vmcnt(0)
	v_lshlrev_b16_e32 v49, 8, v35
	scratch_load_dword v35, off, off offset:948 ; 4-byte Folded Reload
	s_waitcnt vmcnt(0)
	v_or_b32_sdwa v49, v35, v49 dst_sel:WORD_1 dst_unused:UNUSED_PAD src0_sel:BYTE_0 src1_sel:DWORD
	scratch_load_dword v35, off, off offset:816 ; 4-byte Folded Reload
	v_or_b32_sdwa v146, v178, v49 dst_sel:DWORD dst_unused:UNUSED_PAD src0_sel:WORD_0 src1_sel:DWORD
	s_waitcnt vmcnt(0)
	v_lshlrev_b16_e32 v48, 8, v35
	scratch_load_dword v35, off, off offset:812 ; 4-byte Folded Reload
	s_waitcnt vmcnt(0)
	v_or_b32_sdwa v48, v35, v48 dst_sel:WORD_1 dst_unused:UNUSED_PAD src0_sel:BYTE_0 src1_sel:DWORD
	scratch_load_dword v35, off, off offset:800 ; 4-byte Folded Reload
	v_or_b32_sdwa v37, v37, v48 dst_sel:DWORD dst_unused:UNUSED_PAD src0_sel:WORD_0 src1_sel:DWORD
	s_waitcnt vmcnt(0)
	v_lshlrev_b16_e32 v49, 8, v35
	scratch_load_dword v35, off, off offset:796 ; 4-byte Folded Reload
	s_waitcnt vmcnt(0)
	v_or_b32_sdwa v49, v35, v49 dst_sel:WORD_1 dst_unused:UNUSED_PAD src0_sel:BYTE_0 src1_sel:DWORD
	scratch_load_dword v35, off, off offset:996 ; 4-byte Folded Reload
	v_or_b32_sdwa v36, v36, v49 dst_sel:DWORD dst_unused:UNUSED_PAD src0_sel:WORD_0 src1_sel:DWORD
	s_waitcnt vmcnt(0)
	v_lshlrev_b16_e32 v48, 8, v35
	scratch_load_dword v35, off, off offset:992 ; 4-byte Folded Reload
	s_waitcnt vmcnt(0)
	v_or_b32_sdwa v48, v35, v48 dst_sel:WORD_1 dst_unused:UNUSED_PAD src0_sel:BYTE_0 src1_sel:DWORD
	scratch_load_dword v35, off, off offset:984 ; 4-byte Folded Reload
	v_or_b32_sdwa v141, v148, v48 dst_sel:DWORD dst_unused:UNUSED_PAD src0_sel:WORD_0 src1_sel:DWORD
	v_lshlrev_b16_e32 v48, 8, v0
	scratch_load_dword v0, off, off offset:1020 ; 4-byte Folded Reload
	s_waitcnt vmcnt(1)
	v_lshlrev_b16_e32 v49, 8, v35
	scratch_load_dword v35, off, off offset:976 ; 4-byte Folded Reload
	s_waitcnt vmcnt(1)
	v_or_b32_sdwa v48, v0, v48 dst_sel:WORD_1 dst_unused:UNUSED_PAD src0_sel:BYTE_0 src1_sel:DWORD
	scratch_load_dword v0, off, off offset:1000 ; 4-byte Folded Reload
	s_waitcnt vmcnt(1)
	v_or_b32_sdwa v49, v35, v49 dst_sel:WORD_1 dst_unused:UNUSED_PAD src0_sel:BYTE_0 src1_sel:DWORD
	s_nop 0
	v_or_b32_sdwa v140, v149, v49 dst_sel:DWORD dst_unused:UNUSED_PAD src0_sel:WORD_0 src1_sel:DWORD
	v_or_b32_sdwa v149, v175, v48 dst_sel:DWORD dst_unused:UNUSED_PAD src0_sel:WORD_0 src1_sel:DWORD
	s_waitcnt vmcnt(0)
	v_lshlrev_b16_e32 v49, 8, v0
	scratch_load_dword v0, off, off offset:344 ; 4-byte Folded Reload
	s_waitcnt vmcnt(0)
	v_or_b32_sdwa v49, v0, v49 dst_sel:WORD_1 dst_unused:UNUSED_PAD src0_sel:BYTE_0 src1_sel:DWORD
	v_accvgpr_read_b32 v0, a253
	v_lshlrev_b16_e32 v48, 8, v0
	v_accvgpr_read_b32 v0, a254
	v_or_b32_sdwa v48, v0, v48 dst_sel:WORD_1 dst_unused:UNUSED_PAD src0_sel:BYTE_0 src1_sel:DWORD
	scratch_load_dword v0, off, off offset:1016 ; 4-byte Folded Reload
	v_or_b32_sdwa v148, v174, v49 dst_sel:DWORD dst_unused:UNUSED_PAD src0_sel:WORD_0 src1_sel:DWORD
	v_or_b32_sdwa v139, v177, v48 dst_sel:DWORD dst_unused:UNUSED_PAD src0_sel:WORD_0 src1_sel:DWORD
	s_waitcnt vmcnt(0)
	v_lshlrev_b16_e32 v49, 8, v0
	scratch_load_dword v0, off, off offset:1012 ; 4-byte Folded Reload
	s_waitcnt vmcnt(0)
	v_or_b32_sdwa v0, v0, v49 dst_sel:WORD_1 dst_unused:UNUSED_PAD src0_sel:BYTE_0 src1_sel:DWORD
	s_nop 0
	v_or_b32_sdwa v138, v20, v0 dst_sel:DWORD dst_unused:UNUSED_PAD src0_sel:WORD_0 src1_sel:DWORD
	v_lshlrev_b16_e32 v0, 8, v1
	v_accvgpr_read_b32 v1, a249
	v_or_b32_sdwa v0, v1, v0 dst_sel:WORD_1 dst_unused:UNUSED_PAD src0_sel:BYTE_0 src1_sel:DWORD
	v_accvgpr_read_b32 v1, a231
	v_lshlrev_b16_e32 v1, 8, v1
	v_accvgpr_read_b32 v20, a255
	v_or_b32_sdwa v1, v20, v1 dst_sel:WORD_1 dst_unused:UNUSED_PAD src0_sel:BYTE_0 src1_sel:DWORD
	v_or_b32_sdwa v151, v19, v0 dst_sel:DWORD dst_unused:UNUSED_PAD src0_sel:WORD_0 src1_sel:DWORD
	v_accvgpr_read_b32 v0, a246
	v_or_b32_sdwa v150, v17, v1 dst_sel:DWORD dst_unused:UNUSED_PAD src0_sel:WORD_0 src1_sel:DWORD
	v_lshlrev_b16_e32 v0, 8, v0
	v_accvgpr_read_b32 v1, a242
	v_or_b32_sdwa v0, v1, v0 dst_sel:WORD_1 dst_unused:UNUSED_PAD src0_sel:BYTE_0 src1_sel:DWORD
	v_accvgpr_read_b32 v1, a239
	v_lshlrev_b16_e32 v1, 8, v1
	v_accvgpr_read_b32 v17, a252
	v_or_b32_sdwa v1, v17, v1 dst_sel:WORD_1 dst_unused:UNUSED_PAD src0_sel:BYTE_0 src1_sel:DWORD
	v_or_b32_sdwa v135, v16, v0 dst_sel:DWORD dst_unused:UNUSED_PAD src0_sel:WORD_0 src1_sel:DWORD
	v_accvgpr_read_b32 v0, a226
	v_or_b32_sdwa v134, v170, v1 dst_sel:DWORD dst_unused:UNUSED_PAD src0_sel:WORD_0 src1_sel:DWORD
	v_lshlrev_b16_e32 v0, 8, v0
	v_accvgpr_read_b32 v1, a251
	v_or_b32_sdwa v0, v1, v0 dst_sel:WORD_1 dst_unused:UNUSED_PAD src0_sel:BYTE_0 src1_sel:DWORD
	v_accvgpr_read_b32 v1, a233
	v_lshlrev_b16_e32 v1, 8, v1
	v_accvgpr_read_b32 v16, a230
	v_or_b32_sdwa v1, v16, v1 dst_sel:WORD_1 dst_unused:UNUSED_PAD src0_sel:BYTE_0 src1_sel:DWORD
	v_or_b32_sdwa v153, v167, v0 dst_sel:DWORD dst_unused:UNUSED_PAD src0_sel:WORD_0 src1_sel:DWORD
	v_or_b32_sdwa v152, v166, v1 dst_sel:DWORD dst_unused:UNUSED_PAD src0_sel:WORD_0 src1_sel:DWORD
	v_lshlrev_b16_e32 v0, 8, v59
	v_lshlrev_b16_e32 v1, 8, v34
	v_or_b32_sdwa v0, v224, v0 dst_sel:WORD_1 dst_unused:UNUSED_PAD src0_sel:BYTE_0 src1_sel:DWORD
	v_or_b32_sdwa v1, v41, v1 dst_sel:WORD_1 dst_unused:UNUSED_PAD src0_sel:BYTE_0 src1_sel:DWORD
	v_or_b32_sdwa v129, v169, v0 dst_sel:DWORD dst_unused:UNUSED_PAD src0_sel:WORD_0 src1_sel:DWORD
	v_or_b32_sdwa v128, v168, v1 dst_sel:DWORD dst_unused:UNUSED_PAD src0_sel:WORD_0 src1_sel:DWORD
	v_lshlrev_b16_e32 v0, 8, v38
	v_lshlrev_b16_e32 v1, 8, v188
	v_or_b32_sdwa v0, v226, v0 dst_sel:WORD_1 dst_unused:UNUSED_PAD src0_sel:BYTE_0 src1_sel:DWORD
	;; [unrolled: 6-line block ×5, first 2 shown]
	v_or_b32_sdwa v1, v51, v1 dst_sel:WORD_1 dst_unused:UNUSED_PAD src0_sel:BYTE_0 src1_sel:DWORD
	v_or_b32_sdwa v121, v161, v0 dst_sel:DWORD dst_unused:UNUSED_PAD src0_sel:WORD_0 src1_sel:DWORD
	v_or_b32_sdwa v120, v160, v1 dst_sel:DWORD dst_unused:UNUSED_PAD src0_sel:WORD_0 src1_sel:DWORD
	v_lshlrev_b16_e32 v0, 8, v43
	v_accvgpr_read_b32 v1, a229
	v_or_b32_sdwa v0, v1, v0 dst_sel:WORD_1 dst_unused:UNUSED_PAD src0_sel:BYTE_0 src1_sel:DWORD
	v_accvgpr_read_b32 v1, a228
	v_lshlrev_b16_e32 v1, 8, v1
	v_accvgpr_read_b32 v14, a248
	v_or_b32_sdwa v1, v14, v1 dst_sel:WORD_1 dst_unused:UNUSED_PAD src0_sel:BYTE_0 src1_sel:DWORD
	v_or_b32_sdwa v119, v162, v0 dst_sel:DWORD dst_unused:UNUSED_PAD src0_sel:WORD_0 src1_sel:DWORD
	v_accvgpr_read_b32 v0, a224
	v_or_b32_sdwa v118, v163, v1 dst_sel:DWORD dst_unused:UNUSED_PAD src0_sel:WORD_0 src1_sel:DWORD
	v_lshlrev_b16_e32 v0, 8, v0
	v_accvgpr_read_b32 v1, a247
	v_or_b32_sdwa v0, v1, v0 dst_sel:WORD_1 dst_unused:UNUSED_PAD src0_sel:BYTE_0 src1_sel:DWORD
	v_accvgpr_read_b32 v1, a237
	v_lshlrev_b16_e32 v1, 8, v1
	v_accvgpr_read_b32 v14, a227
	v_or_b32_sdwa v1, v14, v1 dst_sel:WORD_1 dst_unused:UNUSED_PAD src0_sel:BYTE_0 src1_sel:DWORD
	v_or_b32_sdwa v111, v164, v0 dst_sel:DWORD dst_unused:UNUSED_PAD src0_sel:WORD_0 src1_sel:DWORD
	v_accvgpr_read_b32 v0, a245
	;; [unrolled: 10-line block ×3, first 2 shown]
	v_or_b32_sdwa v112, v172, v1 dst_sel:DWORD dst_unused:UNUSED_PAD src0_sel:WORD_0 src1_sel:DWORD
	v_lshlrev_b16_e32 v0, 8, v0
	v_accvgpr_read_b32 v1, a243
	v_or_b32_sdwa v0, v1, v0 dst_sel:WORD_1 dst_unused:UNUSED_PAD src0_sel:BYTE_0 src1_sel:DWORD
	scratch_load_dword v1, off, off offset:1048 ; 4-byte Folded Reload
	scratch_load_dword v14, off, off offset:492 ; 4-byte Folded Reload
	s_waitcnt lgkmcnt(0)
	s_barrier
	v_or_b32_sdwa v137, v173, v0 dst_sel:DWORD dst_unused:UNUSED_PAD src0_sel:WORD_0 src1_sel:DWORD
	scratch_load_dword v0, off, off offset:756 ; 4-byte Folded Reload
	v_accvgpr_read_b32 v21, a131
	v_accvgpr_read_b32 v20, a130
	;; [unrolled: 1-line block ×4, first 2 shown]
	scratch_load_dword v49, off, off offset:1024 ; 4-byte Folded Reload
	scratch_load_dwordx4 v[38:41], off, off offset:512 ; 16-byte Folded Reload
	scratch_load_dword v58, off, off offset:288 ; 4-byte Folded Reload
	s_waitcnt vmcnt(4)
	v_add_u32_e32 v48, v1, v14
	scratch_load_dwordx4 v[14:17], off, off offset:648 ; 16-byte Folded Reload
	v_accvgpr_read_b32 v1, a234
	v_lshlrev_b16_e32 v1, 8, v1
	s_waitcnt vmcnt(4)
	v_lshlrev_b16_e32 v0, 8, v0
	s_waitcnt vmcnt(0)
	ds_write_b128 v48, v[14:17]
	buffer_load_dwordx4 v[14:17], v56, s[0:3], 0 offen
	v_mfma_f32_16x16x32_fp8_fp8 a[136:139], v[22:23], v[156:157], a[136:139]
	v_add_u32_e32 v48, v48, v49
	v_add_u32_e32 v49, s23, v56
	s_waitcnt vmcnt(0)
	scratch_store_dwordx4 off, v[14:17], off offset:648 ; 16-byte Folded Spill
	s_nop 1
	v_accvgpr_read_b32 v14, a241
	v_or_b32_sdwa v1, v14, v1 dst_sel:WORD_1 dst_unused:UNUSED_PAD src0_sel:BYTE_0 src1_sel:DWORD
	scratch_load_dword v14, off, off offset:736 ; 4-byte Folded Reload
	v_or_b32_sdwa v136, v176, v1 dst_sel:DWORD dst_unused:UNUSED_PAD src0_sel:WORD_0 src1_sel:DWORD
	scratch_load_dword v1, off, off offset:752 ; 4-byte Folded Reload
	v_accvgpr_read_b32 v17, a135
	v_accvgpr_read_b32 v16, a134
	;; [unrolled: 1-line block ×3, first 2 shown]
	v_mfma_f32_16x16x32_fp8_fp8 a[128:131], v[36:37], v[120:121], a[136:139]
	s_waitcnt vmcnt(0)
	v_or_b32_sdwa v0, v1, v0 dst_sel:WORD_1 dst_unused:UNUSED_PAD src0_sel:BYTE_0 src1_sel:DWORD
	scratch_load_dword v1, off, off offset:748 ; 4-byte Folded Reload
	s_waitcnt vmcnt(0)
	v_lshlrev_b16_e32 v1, 8, v1
	v_or_b32_sdwa v14, v14, v1 dst_sel:WORD_1 dst_unused:UNUSED_PAD src0_sel:BYTE_0 src1_sel:DWORD
	v_or_b32_sdwa v1, v179, v0 dst_sel:DWORD dst_unused:UNUSED_PAD src0_sel:WORD_0 src1_sel:DWORD
	v_or_b32_sdwa v0, v180, v14 dst_sel:DWORD dst_unused:UNUSED_PAD src0_sel:WORD_0 src1_sel:DWORD
	v_accvgpr_read_b32 v14, a132
	v_accvgpr_write_b32 a139, v17
	v_accvgpr_write_b32 a138, v16
	;; [unrolled: 1-line block ×4, first 2 shown]
	scratch_load_dwordx4 v[14:17], off, off offset:560 ; 16-byte Folded Reload
	s_waitcnt vmcnt(0)
	ds_write_b128 v48, v[14:17]
	buffer_load_dwordx4 v[14:17], v49, s[0:3], 0 offen
	v_mfma_f32_16x16x32_fp8_fp8 a[140:143], v[22:23], v[154:155], a[140:143]
	v_add_u32_e32 v49, s23, v49
	v_add_u32_e32 v61, s23, v49
	s_waitcnt vmcnt(0)
	scratch_store_dwordx4 off, v[14:17], off offset:560 ; 16-byte Folded Spill
	v_mfma_f32_16x16x32_fp8_fp8 a[156:159], v[22:23], v[146:147], a[156:159]
	scratch_load_dword v14, off, off offset:732 ; 4-byte Folded Reload
	scratch_load_dword v15, off, off offset:728 ; 4-byte Folded Reload
	;; [unrolled: 1-line block ×3, first 2 shown]
	v_mfma_f32_16x16x32_fp8_fp8 a[152:155], v[22:23], v[148:149], a[152:155]
	v_accvgpr_read_b32 v17, a99
	s_waitcnt vmcnt(2)
	v_lshlrev_b16_e32 v14, 8, v14
	v_mfma_f32_16x16x32_fp8_fp8 a[252:255], v[22:23], v[150:151], a[148:151]
	s_waitcnt vmcnt(1)
	v_or_b32_sdwa v14, v15, v14 dst_sel:WORD_1 dst_unused:UNUSED_PAD src0_sel:BYTE_0 src1_sel:DWORD
	scratch_load_dword v15, off, off offset:720 ; 4-byte Folded Reload
	s_waitcnt vmcnt(0)
	v_lshlrev_b16_e32 v15, 8, v15
	v_mfma_f32_16x16x32_fp8_fp8 a[228:231], v[22:23], v[152:153], a[144:147]
	v_or_b32_sdwa v15, v16, v15 dst_sel:WORD_1 dst_unused:UNUSED_PAD src0_sel:BYTE_0 src1_sel:DWORD
	v_accvgpr_read_b32 v16, a98
	v_mfma_f32_16x16x32_fp8_fp8 a[132:135], v[36:37], v[126:127], a[140:143]
	s_nop 2
	v_accvgpr_write_b32 a143, v21
	v_accvgpr_write_b32 a142, v20
	;; [unrolled: 1-line block ×4, first 2 shown]
	v_mfma_f32_16x16x32_fp8_fp8 a[144:147], v[36:37], v[140:141], a[156:159]
	v_accvgpr_read_b32 v21, a95
	v_accvgpr_read_b32 v20, a94
	;; [unrolled: 1-line block ×3, first 2 shown]
	v_mfma_f32_16x16x32_fp8_fp8 a[148:151], v[36:37], v[138:139], a[152:155]
	v_accvgpr_read_b32 v18, a92
	v_mfma_f32_16x16x32_fp8_fp8 a[152:155], v[36:37], v[134:135], a[252:255]
	v_mfma_f32_16x16x32_fp8_fp8 a[156:159], v[36:37], v[128:129], a[228:231]
	;; [unrolled: 1-line block ×4, first 2 shown]
	v_or_b32_sdwa v23, v181, v14 dst_sel:DWORD dst_unused:UNUSED_PAD src0_sel:WORD_0 src1_sel:DWORD
	v_or_b32_sdwa v22, v183, v15 dst_sel:DWORD dst_unused:UNUSED_PAD src0_sel:WORD_0 src1_sel:DWORD
	v_accvgpr_read_b32 v15, a97
	v_mfma_f32_16x16x32_fp8_fp8 a[136:139], v[36:37], v[110:111], a[136:139]
	v_accvgpr_read_b32 v14, a96
	v_mfma_f32_16x16x32_fp8_fp8 a[140:143], v[36:37], v[136:137], a[140:143]
	scratch_load_dword v36, off, off offset:1028 ; 4-byte Folded Reload
	s_waitcnt vmcnt(0)
	v_add_u32_e32 v48, v48, v36
	scratch_load_dwordx4 v[34:37], off, off offset:528 ; 16-byte Folded Reload
	s_waitcnt vmcnt(0)
	ds_write_b128 v48, v[34:37]
	v_mfma_f32_16x16x32_fp8_fp8 a[88:91], v[0:1], v[146:147], a[88:91]
	v_mfma_f32_16x16x32_fp8_fp8 a[228:231], v[0:1], v[148:149], a[84:87]
	;; [unrolled: 1-line block ×8, first 2 shown]
	s_nop 1
	v_accvgpr_write_b32 a119, v21
	v_accvgpr_write_b32 a118, v20
	v_accvgpr_write_b32 a117, v19
	v_accvgpr_write_b32 a115, v17
	v_accvgpr_write_b32 a114, v16
	v_accvgpr_write_b32 a113, v15
	v_accvgpr_write_b32 a112, v14
	v_accvgpr_write_b32 a116, v18
	v_mfma_f32_16x16x32_fp8_fp8 a[100:103], v[0:1], v[154:155], a[100:103]
	buffer_load_dwordx4 v[14:17], v49, s[0:3], 0 offen
	v_accvgpr_read_b32 v21, a47
	v_accvgpr_read_b32 v20, a46
	v_mfma_f32_16x16x32_fp8_fp8 a[112:115], v[0:1], v[156:157], a[112:115]
	v_accvgpr_read_b32 v19, a45
	v_accvgpr_read_b32 v18, a44
	s_waitcnt vmcnt(0)
	scratch_store_dwordx4 off, v[14:17], off offset:528 ; 16-byte Folded Spill
	v_mfma_f32_16x16x32_fp8_fp8 a[116:119], v[0:1], v[118:119], a[116:119]
	scratch_load_dword v14, off, off offset:760 ; 4-byte Folded Reload
	scratch_load_dword v15, off, off offset:784 ; 4-byte Folded Reload
	scratch_load_dword v16, off, off offset:764 ; 4-byte Folded Reload
	v_mfma_f32_16x16x32_fp8_fp8 a[228:231], v[0:1], v[112:113], a[80:83]
	scratch_load_dword v0, off, off offset:788 ; 4-byte Folded Reload
	scratch_load_dword v1, off, off offset:780 ; 4-byte Folded Reload
	v_accvgpr_read_b32 v17, a51
	v_mfma_f32_16x16x32_fp8_fp8 a[80:83], v[22:23], v[126:127], a[100:103]
	s_waitcnt vmcnt(1)
	v_lshlrev_b16_e32 v0, 8, v0
	s_waitcnt vmcnt(0)
	v_or_b32_sdwa v0, v1, v0 dst_sel:WORD_1 dst_unused:UNUSED_PAD src0_sel:BYTE_0 src1_sel:DWORD
	scratch_load_dword v1, off, off offset:768 ; 4-byte Folded Reload
	v_mfma_f32_16x16x32_fp8_fp8 a[100:103], v[22:23], v[120:121], a[112:115]
	s_waitcnt vmcnt(0)
	v_lshlrev_b16_e32 v1, 8, v1
	v_or_b32_sdwa v14, v14, v1 dst_sel:WORD_1 dst_unused:UNUSED_PAD src0_sel:BYTE_0 src1_sel:DWORD
	v_or_b32_sdwa v1, v205, v0 dst_sel:DWORD dst_unused:UNUSED_PAD src0_sel:WORD_0 src1_sel:DWORD
	v_or_b32_sdwa v0, v206, v14 dst_sel:DWORD dst_unused:UNUSED_PAD src0_sel:WORD_0 src1_sel:DWORD
	scratch_load_dword v14, off, off offset:792 ; 4-byte Folded Reload
	v_mfma_f32_16x16x32_fp8_fp8 a[112:115], v[22:23], v[110:111], a[116:119]
	s_waitcnt vmcnt(0)
	v_lshlrev_b16_e32 v14, 8, v14
	v_or_b32_sdwa v14, v15, v14 dst_sel:WORD_1 dst_unused:UNUSED_PAD src0_sel:BYTE_0 src1_sel:DWORD
	scratch_load_dword v15, off, off offset:776 ; 4-byte Folded Reload
	v_mfma_f32_16x16x32_fp8_fp8 a[116:119], v[22:23], v[136:137], a[228:231]
	scratch_load_dword v22, off, off offset:1032 ; 4-byte Folded Reload
	v_or_b32_sdwa v37, v207, v14 dst_sel:DWORD dst_unused:UNUSED_PAD src0_sel:WORD_0 src1_sel:DWORD
	v_accvgpr_read_b32 v14, a48
	s_waitcnt vmcnt(1)
	v_lshlrev_b16_e32 v15, 8, v15
	v_or_b32_sdwa v15, v16, v15 dst_sel:WORD_1 dst_unused:UNUSED_PAD src0_sel:BYTE_0 src1_sel:DWORD
	s_waitcnt vmcnt(0)
	v_add_u32_e32 v60, v48, v22
	v_or_b32_sdwa v36, v210, v15 dst_sel:DWORD dst_unused:UNUSED_PAD src0_sel:WORD_0 src1_sel:DWORD
	ds_write_b128 v60, v[38:41]
	v_mfma_f32_16x16x32_fp8_fp8 a[252:255], v[0:1], v[112:113], a[40:43]
	v_accvgpr_read_b32 v16, a50
	v_accvgpr_read_b32 v15, a49
	buffer_load_dwordx4 v[38:41], v61, s[0:3], 0 offen
	v_mfma_f32_16x16x32_fp8_fp8 a[68:71], v[0:1], v[146:147], a[68:71]
	s_waitcnt vmcnt(0)
	scratch_store_dwordx4 off, v[38:41], off offset:512 ; 16-byte Folded Spill
	v_mfma_f32_16x16x32_fp8_fp8 a[64:67], v[0:1], v[148:149], a[64:67]
	s_nop 0
	v_or_b32_sdwa v40, v208, v24 dst_sel:WORD_1 dst_unused:UNUSED_PAD src0_sel:BYTE_0 src1_sel:DWORD
	v_lshlrev_b16_e32 v24, 8, v199
	v_or_b32_sdwa v41, v254, v24 dst_sel:WORD_1 dst_unused:UNUSED_PAD src0_sel:BYTE_0 src1_sel:DWORD
	v_mfma_f32_16x16x32_fp8_fp8 a[48:51], v[36:37], v[140:141], a[68:71]
	v_lshlrev_b16_e32 v24, 8, v248
	v_lshlrev_b16_e32 v39, 8, v44
	;; [unrolled: 1-line block ×3, first 2 shown]
	v_mfma_f32_16x16x32_fp8_fp8 a[44:47], v[36:37], v[138:139], a[64:67]
	v_lshlrev_b16_e32 v44, 8, v218
	v_mfma_f32_16x16x32_fp8_fp8 a[60:63], v[0:1], v[150:151], a[60:63]
	v_mfma_f32_16x16x32_fp8_fp8 a[64:67], v[0:1], v[152:153], a[52:55]
	s_nop 2
	v_accvgpr_write_b32 a55, v17
	v_accvgpr_write_b32 a54, v16
	;; [unrolled: 1-line block ×4, first 2 shown]
	scratch_load_dword v14, off, off offset:856 ; 4-byte Folded Reload
	scratch_load_dword v15, off, off offset:852 ; 4-byte Folded Reload
	v_mfma_f32_16x16x32_fp8_fp8 a[68:71], v[0:1], v[154:155], a[52:55]
	s_waitcnt vmcnt(1)
	v_lshlrev_b16_e32 v14, 8, v14
	s_nop 0
	v_accvgpr_write_b32 a55, v21
	v_accvgpr_write_b32 a54, v20
	;; [unrolled: 1-line block ×4, first 2 shown]
	v_or_b32_sdwa v89, v89, v14 dst_sel:DWORD dst_unused:UNUSED_PAD src0_sel:BYTE_0 src1_sel:DWORD
	scratch_load_dword v14, off, off offset:636 ; 4-byte Folded Reload
	v_mfma_f32_16x16x32_fp8_fp8 a[228:231], v[0:1], v[156:157], a[52:55]
	s_waitcnt vmcnt(1)
	v_lshlrev_b16_e32 v15, 8, v15
	v_or_b32_sdwa v88, v88, v15 dst_sel:DWORD dst_unused:UNUSED_PAD src0_sel:BYTE_0 src1_sel:DWORD
	v_accvgpr_read_b32 v21, a75
	v_mfma_f32_16x16x32_fp8_fp8 a[56:59], v[0:1], v[118:119], a[56:59]
	scratch_load_dword v0, off, off offset:840 ; 4-byte Folded Reload
	scratch_load_dword v1, off, off offset:836 ; 4-byte Folded Reload
	v_accvgpr_read_b32 v20, a74
	v_accvgpr_read_b32 v19, a73
	;; [unrolled: 1-line block ×3, first 2 shown]
	s_waitcnt vmcnt(1)
	v_lshlrev_b16_e32 v0, 8, v0
	s_waitcnt vmcnt(0)
	v_lshlrev_b16_e32 v1, 8, v1
	v_or_b32_sdwa v87, v87, v0 dst_sel:DWORD dst_unused:UNUSED_PAD src0_sel:BYTE_0 src1_sel:DWORD
	scratch_load_dword v0, off, off offset:692 ; 4-byte Folded Reload
	v_or_b32_sdwa v86, v86, v1 dst_sel:DWORD dst_unused:UNUSED_PAD src0_sel:BYTE_0 src1_sel:DWORD
	scratch_load_dword v1, off, off offset:668 ; 4-byte Folded Reload
	s_waitcnt vmcnt(1)
	v_lshlrev_b16_e32 v0, 8, v0
	s_waitcnt vmcnt(0)
	v_or_b32_sdwa v0, v1, v0 dst_sel:WORD_1 dst_unused:UNUSED_PAD src0_sel:BYTE_0 src1_sel:DWORD
	scratch_load_dword v1, off, off offset:644 ; 4-byte Folded Reload
	v_or_b32_sdwa v23, v4, v0 dst_sel:DWORD dst_unused:UNUSED_PAD src0_sel:WORD_0 src1_sel:DWORD
	scratch_load_dword v0, off, off offset:700 ; 4-byte Folded Reload
	scratch_load_dword v4, off, off offset:640 ; 4-byte Folded Reload
	s_waitcnt vmcnt(2)
	v_lshlrev_b16_e32 v1, 8, v1
	v_or_b32_sdwa v1, v14, v1 dst_sel:WORD_1 dst_unused:UNUSED_PAD src0_sel:BYTE_0 src1_sel:DWORD
	s_waitcnt vmcnt(1)
	v_lshlrev_b16_e32 v0, 8, v0
	v_or_b32_sdwa v22, v13, v1 dst_sel:DWORD dst_unused:UNUSED_PAD src0_sel:WORD_0 src1_sel:DWORD
	scratch_load_dword v1, off, off offset:676 ; 4-byte Folded Reload
	scratch_load_dwordx4 v[14:17], off, off offset:496 ; 16-byte Folded Reload
	v_add_u32_e32 v13, s23, v61
	s_waitcnt vmcnt(1)
	v_or_b32_sdwa v0, v1, v0 dst_sel:WORD_1 dst_unused:UNUSED_PAD src0_sel:BYTE_0 src1_sel:DWORD
	s_nop 0
	v_or_b32_sdwa v49, v2, v0 dst_sel:DWORD dst_unused:UNUSED_PAD src0_sel:WORD_0 src1_sel:DWORD
	scratch_load_dword v0, off, off offset:1036 ; 4-byte Folded Reload
	scratch_load_dword v1, off, off offset:664 ; 4-byte Folded Reload
	v_accvgpr_read_b32 v2, a250
	v_lshlrev_b16_e32 v2, 8, v2
	s_waitcnt vmcnt(1)
	v_add_u32_e32 v0, v60, v0
	ds_write_b128 v0, v[14:17]
	buffer_load_dwordx4 v[14:17], v13, s[0:3], 0 offen
	s_waitcnt vmcnt(1)
	v_lshlrev_b16_e32 v1, 8, v1
	v_or_b32_sdwa v1, v4, v1 dst_sel:WORD_1 dst_unused:UNUSED_PAD src0_sel:BYTE_0 src1_sel:DWORD
	v_mfma_f32_16x16x32_fp8_fp8 a[120:123], v[22:23], v[154:155], a[120:123]
	v_or_b32_sdwa v48, v3, v1 dst_sel:DWORD dst_unused:UNUSED_PAD src0_sel:WORD_0 src1_sel:DWORD
	v_accvgpr_read_b32 v1, a244
	v_accvgpr_read_b32 v3, a240
	v_lshlrev_b16_e32 v1, 8, v1
	v_or_b32_sdwa v4, v107, v1 dst_sel:DWORD dst_unused:UNUSED_PAD src0_sel:BYTE_0 src1_sel:DWORD
	v_mfma_f32_16x16x32_fp8_fp8 a[52:55], v[36:37], v[134:135], a[60:63]
	v_add_u32_e32 v13, s23, v13
	v_add_u32_e32 v107, s24, v55
	s_waitcnt vmcnt(0)
	scratch_store_dwordx4 off, v[14:17], off offset:496 ; 16-byte Folded Spill
	s_nop 1
	v_lshlrev_b16_e32 v14, 8, v3
	v_accvgpr_read_b32 v3, a238
	v_lshlrev_b16_e32 v15, 8, v3
	v_or_b32_sdwa v1, v109, v14 dst_sel:DWORD dst_unused:UNUSED_PAD src0_sel:BYTE_0 src1_sel:DWORD
	scratch_load_dword v14, off, off offset:632 ; 4-byte Folded Reload
	v_or_b32_sdwa v3, v106, v2 dst_sel:DWORD dst_unused:UNUSED_PAD src0_sel:BYTE_0 src1_sel:DWORD
	v_or_b32_sdwa v2, v108, v15 dst_sel:DWORD dst_unused:UNUSED_PAD src0_sel:BYTE_0 src1_sel:DWORD
	scratch_load_dword v15, off, off offset:628 ; 4-byte Folded Reload
	scratch_load_dword v16, off, off offset:612 ; 4-byte Folded Reload
	v_mfma_f32_16x16x32_fp8_fp8 a[60:63], v[36:37], v[128:129], a[64:67]
	v_accvgpr_read_b32 v17, a79
	s_waitcnt vmcnt(2)
	v_lshlrev_b16_e32 v14, 8, v14
	v_mfma_f32_16x16x32_fp8_fp8 a[64:67], v[36:37], v[126:127], a[68:71]
	s_waitcnt vmcnt(1)
	v_or_b32_sdwa v14, v15, v14 dst_sel:WORD_1 dst_unused:UNUSED_PAD src0_sel:BYTE_0 src1_sel:DWORD
	scratch_load_dword v15, off, off offset:624 ; 4-byte Folded Reload
	v_mfma_f32_16x16x32_fp8_fp8 a[68:71], v[36:37], v[120:121], a[228:231]
	s_waitcnt vmcnt(0)
	v_lshlrev_b16_e32 v15, 8, v15
	v_or_b32_sdwa v15, v16, v15 dst_sel:WORD_1 dst_unused:UNUSED_PAD src0_sel:BYTE_0 src1_sel:DWORD
	v_mfma_f32_16x16x32_fp8_fp8 a[40:43], v[36:37], v[110:111], a[56:59]
	v_accvgpr_read_b32 v16, a78
	v_mfma_f32_16x16x32_fp8_fp8 a[56:59], v[36:37], v[136:137], a[252:255]
	v_or_b32_sdwa v36, v7, v15 dst_sel:DWORD dst_unused:UNUSED_PAD src0_sel:WORD_0 src1_sel:DWORD
	scratch_load_dword v7, off, off offset:1040 ; 4-byte Folded Reload
	v_or_b32_sdwa v37, v8, v14 dst_sel:DWORD dst_unused:UNUSED_PAD src0_sel:WORD_0 src1_sel:DWORD
	v_accvgpr_read_b32 v15, a77
	v_accvgpr_read_b32 v14, a76
	v_mfma_f32_16x16x32_fp8_fp8 a[76:79], v[48:49], v[126:127], a[120:123]
	scratch_load_dword v8, off, off offset:616 ; 4-byte Folded Reload
	s_waitcnt vmcnt(1)
	v_add_u32_e32 v0, v0, v7
	v_accvgpr_write_b32 a123, v17
	v_accvgpr_write_b32 a122, v16
	;; [unrolled: 1-line block ×4, first 2 shown]
	scratch_load_dwordx4 v[14:17], off, off offset:348 ; 16-byte Folded Reload
	scratch_load_dword v7, off, off offset:620 ; 4-byte Folded Reload
	s_waitcnt vmcnt(1)
	ds_write_b128 v0, v[14:17]
	buffer_load_dwordx4 v[14:17], v13, s[0:3], 0 offen
	s_waitcnt vmcnt(1)
	v_lshlrev_b16_e32 v7, 8, v7
	v_or_b32_sdwa v7, v8, v7 dst_sel:WORD_1 dst_unused:UNUSED_PAD src0_sel:BYTE_0 src1_sel:DWORD
	scratch_load_dword v8, off, off offset:608 ; 4-byte Folded Reload
	v_mfma_f32_16x16x32_fp8_fp8 a[124:127], v[22:23], v[156:157], a[124:127]
	v_add_u32_e32 v13, s23, v13
	s_waitcnt vmcnt(1)
	scratch_store_dwordx4 off, v[14:17], off offset:348 ; 16-byte Folded Spill
	scratch_load_dword v14, off, off offset:604 ; 4-byte Folded Reload
	s_nop 0
	v_or_b32_sdwa v15, v5, v7 dst_sel:DWORD dst_unused:UNUSED_PAD src0_sel:WORD_0 src1_sel:DWORD
	v_lshlrev_b16_e32 v5, 8, v209
	v_lshlrev_b16_e32 v16, 8, v32
	v_or_b32_sdwa v7, v123, v5 dst_sel:DWORD dst_unused:UNUSED_PAD src0_sel:BYTE_0 src1_sel:DWORD
	v_or_b32_sdwa v5, v125, v16 dst_sel:DWORD dst_unused:UNUSED_PAD src0_sel:BYTE_0 src1_sel:DWORD
	scratch_load_dword v16, off, off offset:1044 ; 4-byte Folded Reload
	s_waitcnt vmcnt(3)
	v_lshlrev_b16_e32 v8, 8, v8
	v_mfma_f32_16x16x32_fp8_fp8 a[72:75], v[48:49], v[120:121], a[124:127]
	v_lshlrev_b16_e32 v17, 8, v31
	v_accvgpr_read_b32 v125, a7
	v_accvgpr_read_b32 v123, a5
	v_accvgpr_write_b32 a127, v21
	v_accvgpr_write_b32 a126, v20
	;; [unrolled: 1-line block ×4, first 2 shown]
	v_lshlrev_b16_e32 v20, 8, v203
	scratch_load_dword v21, off, off offset:252 ; 4-byte Folded Reload
	v_lshlrev_b16_e32 v32, 8, v195
	v_or_b32_sdwa v29, v29, v32 dst_sel:WORD_1 dst_unused:UNUSED_PAD src0_sel:BYTE_0 src1_sel:DWORD
	scratch_load_dword v32, off, off offset:964 ; 4-byte Folded Reload
	v_lshlrev_b16_e32 v31, 8, v217
	v_or_b32_sdwa v108, v214, v31 dst_sel:WORD_1 dst_unused:UNUSED_PAD src0_sel:BYTE_0 src1_sel:DWORD
	v_lshlrev_b16_e32 v31, 8, v197
	v_or_b32_sdwa v109, v196, v31 dst_sel:WORD_1 dst_unused:UNUSED_PAD src0_sel:BYTE_0 src1_sel:DWORD
	;; [unrolled: 2-line block ×3, first 2 shown]
	s_waitcnt vmcnt(3)
	v_or_b32_sdwa v8, v14, v8 dst_sel:WORD_1 dst_unused:UNUSED_PAD src0_sel:BYTE_0 src1_sel:DWORD
	s_nop 0
	v_or_b32_sdwa v14, v6, v8 dst_sel:DWORD dst_unused:UNUSED_PAD src0_sel:WORD_0 src1_sel:DWORD
	v_lshlrev_b16_e32 v6, 8, v216
	v_or_b32_sdwa v8, v122, v6 dst_sel:DWORD dst_unused:UNUSED_PAD src0_sel:BYTE_0 src1_sel:DWORD
	v_or_b32_sdwa v6, v124, v17 dst_sel:DWORD dst_unused:UNUSED_PAD src0_sel:BYTE_0 src1_sel:DWORD
	v_accvgpr_read_b32 v124, a6
	s_waitcnt vmcnt(2)
	v_add_u32_e32 v0, v0, v16
	scratch_load_dwordx4 v[16:19], off, off offset:364 ; 16-byte Folded Reload
	v_accvgpr_read_b32 v122, a4
	scratch_store_dword off, v0, off offset:492 ; 4-byte Folded Spill
	v_accvgpr_mov_b32 a7, a3
	v_accvgpr_mov_b32 a6, a2
	;; [unrolled: 1-line block ×4, first 2 shown]
	v_accvgpr_write_b32 a0, v122
	v_accvgpr_write_b32 a1, v123
	;; [unrolled: 1-line block ×4, first 2 shown]
	scratch_load_dwordx4 v[122:125], off, off offset:444 ; 16-byte Folded Reload
	s_waitcnt vmcnt(2)
	ds_write_b128 v0, v[16:19]
	scratch_load_dword v0, off, off offset:600 ; 4-byte Folded Reload
	buffer_load_dwordx4 v[16:19], v13, s[0:3], 0 offen
	s_waitcnt vmcnt(1)
	v_lshlrev_b16_e32 v0, 8, v0
	scratch_load_dword v13, off, off offset:596 ; 4-byte Folded Reload
	s_waitcnt vmcnt(0)
	v_or_b32_sdwa v0, v13, v0 dst_sel:WORD_1 dst_unused:UNUSED_PAD src0_sel:BYTE_0 src1_sel:DWORD
	scratch_load_dword v13, off, off offset:588 ; 4-byte Folded Reload
	s_waitcnt vmcnt(0)
	v_lshlrev_b16_e32 v13, 8, v13
	scratch_store_dwordx4 off, v[16:19], off offset:364 ; 16-byte Folded Spill
	scratch_load_dword v16, off, off offset:580 ; 4-byte Folded Reload
	s_waitcnt vmcnt(0)
	v_or_b32_sdwa v16, v16, v13 dst_sel:WORD_1 dst_unused:UNUSED_PAD src0_sel:BYTE_0 src1_sel:DWORD
	v_or_b32_sdwa v13, v11, v0 dst_sel:DWORD dst_unused:UNUSED_PAD src0_sel:WORD_0 src1_sel:DWORD
	scratch_load_dword v0, off, off offset:296 ; 4-byte Folded Reload
	scratch_load_dword v11, off, off offset:292 ; 4-byte Folded Reload
	v_or_b32_sdwa v12, v12, v16 dst_sel:DWORD dst_unused:UNUSED_PAD src0_sel:WORD_0 src1_sel:DWORD
	scratch_load_dword v16, off, off offset:584 ; 4-byte Folded Reload
	s_waitcnt vmcnt(2)
	v_lshlrev_b16_e32 v0, 8, v0
	s_waitcnt vmcnt(1)
	v_or_b32_sdwa v0, v11, v0 dst_sel:WORD_1 dst_unused:UNUSED_PAD src0_sel:BYTE_0 src1_sel:DWORD
	scratch_load_dword v11, off, off offset:592 ; 4-byte Folded Reload
	v_or_b32_sdwa v19, v9, v0 dst_sel:DWORD dst_unused:UNUSED_PAD src0_sel:WORD_0 src1_sel:DWORD
	v_mfma_f32_16x16x32_fp8_fp8 a[220:223], v[12:13], v[112:113], a[220:223]
	scratch_load_dword v0, off, off offset:1084 ; 4-byte Folded Reload
	scratch_load_dword v9, off, off offset:576 ; 4-byte Folded Reload
	s_waitcnt vmcnt(2)
	v_lshlrev_b16_e32 v11, 8, v11
	v_or_b32_sdwa v11, v16, v11 dst_sel:WORD_1 dst_unused:UNUSED_PAD src0_sel:BYTE_0 src1_sel:DWORD
	s_waitcnt vmcnt(0)
	v_add_u32_e32 v0, v0, v9
	v_or_b32_sdwa v18, v10, v11 dst_sel:DWORD dst_unused:UNUSED_PAD src0_sel:WORD_0 src1_sel:DWORD
	v_lshlrev_b16_e32 v9, 8, v234
	v_or_b32_sdwa v10, v115, v9 dst_sel:DWORD dst_unused:UNUSED_PAD src0_sel:BYTE_0 src1_sel:DWORD
	v_mfma_f32_16x16x32_fp8_fp8 a[220:223], v[18:19], v[136:137], a[220:223]
	v_lshlrev_b16_e32 v11, 8, v230
	v_or_b32_sdwa v11, v114, v11 dst_sel:DWORD dst_unused:UNUSED_PAD src0_sel:BYTE_0 src1_sel:DWORD
	v_lshlrev_b16_e32 v115, 8, v192
	v_mfma_f32_16x16x32_fp8_fp8 a[196:199], v[12:13], v[150:151], a[196:199]
	v_or_b32_sdwa v99, v99, v115 dst_sel:DWORD dst_unused:UNUSED_PAD src0_sel:BYTE_0 src1_sel:DWORD
	v_mfma_f32_16x16x32_fp8_fp8 a[200:203], v[12:13], v[152:153], a[200:203]
	v_mfma_f32_16x16x32_fp8_fp8 a[208:211], v[12:13], v[154:155], a[208:211]
	;; [unrolled: 1-line block ×23, first 2 shown]
	v_lshlrev_b16_e32 v36, 8, v27
	v_lshlrev_b16_e32 v27, 8, v194
	;; [unrolled: 1-line block ×3, first 2 shown]
	v_mfma_f32_16x16x32_fp8_fp8 a[168:171], v[14:15], v[140:141], a[36:39]
	v_mfma_f32_16x16x32_fp8_fp8 a[36:39], v[14:15], v[138:139], a[228:231]
	scratch_load_dwordx4 v[14:17], off, off offset:380 ; 16-byte Folded Reload
	s_waitcnt vmcnt(0)
	ds_write_b128 v0, v[14:17] offset:28672
	buffer_load_dwordx4 v[14:17], v55, s[4:7], 0 offen
	v_mfma_f32_16x16x32_fp8_fp8 a[160:163], v[12:13], v[146:147], a[160:163]
	s_waitcnt vmcnt(0)
	scratch_store_dwordx4 off, v[14:17], off offset:380 ; 16-byte Folded Spill
	v_mfma_f32_16x16x32_fp8_fp8 a[164:167], v[12:13], v[148:149], a[164:167]
	v_lshlrev_b16_e32 v12, 8, v233
	v_lshlrev_b16_e32 v13, 8, v229
	v_or_b32_sdwa v9, v117, v12 dst_sel:DWORD dst_unused:UNUSED_PAD src0_sel:BYTE_0 src1_sel:DWORD
	v_or_b32_sdwa v12, v116, v13 dst_sel:DWORD dst_unused:UNUSED_PAD src0_sel:BYTE_0 src1_sel:DWORD
	v_lshlrev_b16_e32 v13, 8, v215
	v_lshlrev_b16_e32 v17, 8, v204
	;; [unrolled: 1-line block ×3, first 2 shown]
	v_or_b32_sdwa v15, v143, v13 dst_sel:DWORD dst_unused:UNUSED_PAD src0_sel:BYTE_0 src1_sel:DWORD
	v_or_b32_sdwa v13, v145, v17 dst_sel:DWORD dst_unused:UNUSED_PAD src0_sel:BYTE_0 src1_sel:DWORD
	scratch_load_dword v17, off, off offset:272 ; 4-byte Folded Reload
	v_or_b32_sdwa v16, v142, v14 dst_sel:DWORD dst_unused:UNUSED_PAD src0_sel:BYTE_0 src1_sel:DWORD
	v_or_b32_sdwa v14, v144, v20 dst_sel:DWORD dst_unused:UNUSED_PAD src0_sel:BYTE_0 src1_sel:DWORD
	scratch_load_dword v20, off, off offset:264 ; 4-byte Folded Reload
	v_mfma_f32_16x16x32_fp8_fp8 a[160:163], v[18:19], v[140:141], a[160:163]
	v_lshlrev_b16_e32 v144, 8, v241
	v_or_b32_sdwa v116, v193, v27 dst_sel:WORD_1 dst_unused:UNUSED_PAD src0_sel:BYTE_0 src1_sel:DWORD
	v_lshlrev_b16_e32 v117, 8, v252
	v_mfma_f32_16x16x32_fp8_fp8 a[164:167], v[18:19], v[138:139], a[164:167]
	scratch_load_dword v18, off, off offset:200 ; 4-byte Folded Reload
	v_or_b32_sdwa v98, v98, v117 dst_sel:DWORD dst_unused:UNUSED_PAD src0_sel:BYTE_0 src1_sel:DWORD
	v_or_b32_sdwa v117, v99, v40 dst_sel:DWORD dst_unused:UNUSED_PAD src0_sel:WORD_0 src1_sel:DWORD
	v_mfma_f32_16x16x32_fp8_fp8 a[120:123], v[22:23], v[118:119], a[120:123]
	v_lshlrev_b16_e32 v142, 8, v247
	v_or_b32_sdwa v93, v93, v142 dst_sel:DWORD dst_unused:UNUSED_PAD src0_sel:BYTE_0 src1_sel:DWORD
	v_lshlrev_b16_e32 v143, 8, v240
	v_mfma_f32_16x16x32_fp8_fp8 a[124:127], v[22:23], v[112:113], a[124:127]
	v_lshlrev_b16_e32 v145, 8, v219
	v_or_b32_sdwa v95, v95, v143 dst_sel:DWORD dst_unused:UNUSED_PAD src0_sel:BYTE_0 src1_sel:DWORD
	v_or_b32_sdwa v94, v94, v145 dst_sel:DWORD dst_unused:UNUSED_PAD src0_sel:BYTE_0 src1_sel:DWORD
	v_mfma_f32_16x16x32_fp8_fp8 a[28:31], v[22:23], v[146:147], a[28:31]
	s_waitcnt vmcnt(2)
	v_lshlrev_b16_e32 v17, 8, v17
	v_mfma_f32_16x16x32_fp8_fp8 a[32:35], v[22:23], v[148:149], a[32:35]
	s_waitcnt vmcnt(1)
	v_or_b32_sdwa v17, v20, v17 dst_sel:WORD_1 dst_unused:UNUSED_PAD src0_sel:BYTE_0 src1_sel:DWORD
	scratch_load_dword v20, off, off offset:260 ; 4-byte Folded Reload
	v_or_b32_sdwa v87, v87, v17 dst_sel:DWORD dst_unused:UNUSED_PAD src0_sel:WORD_0 src1_sel:DWORD
	scratch_load_dword v17, off, off offset:1052 ; 4-byte Folded Reload
	v_mfma_f32_16x16x32_fp8_fp8 a[104:107], v[22:23], v[150:151], a[104:107]
	s_waitcnt vmcnt(1)
	v_lshlrev_b16_e32 v20, 8, v20
	v_or_b32_sdwa v20, v21, v20 dst_sel:WORD_1 dst_unused:UNUSED_PAD src0_sel:BYTE_0 src1_sel:DWORD
	v_mfma_f32_16x16x32_fp8_fp8 a[108:111], v[22:23], v[152:153], a[108:111]
	v_or_b32_sdwa v86, v86, v20 dst_sel:DWORD dst_unused:UNUSED_PAD src0_sel:WORD_0 src1_sel:DWORD
	scratch_load_dwordx4 v[20:23], off, off offset:396 ; 16-byte Folded Reload
	s_waitcnt vmcnt(1)
	v_add_u32_e32 v19, v17, v0
	scratch_load_dword v17, off, off offset:204 ; 4-byte Folded Reload
	s_waitcnt vmcnt(1)
	ds_write_b128 v19, v[20:23] offset:28800
	buffer_load_dwordx4 v[20:23], v107, s[4:7], 0 offen
	s_waitcnt vmcnt(1)
	v_lshlrev_b16_e32 v17, 8, v17
	v_or_b32_sdwa v17, v18, v17 dst_sel:WORD_1 dst_unused:UNUSED_PAD src0_sel:BYTE_0 src1_sel:DWORD
	scratch_load_dword v18, off, off offset:196 ; 4-byte Folded Reload
	v_or_b32_sdwa v89, v89, v17 dst_sel:DWORD dst_unused:UNUSED_PAD src0_sel:WORD_0 src1_sel:DWORD
	v_lshlrev_b16_e32 v17, 8, v202
	v_mfma_f32_16x16x32_fp8_fp8 a[228:231], v[86:87], v[148:149], a[24:27]
	v_lshlrev_b16_e32 v149, 8, v222
	v_lshlrev_b16_e32 v148, 8, v57
	s_waitcnt vmcnt(1)
	scratch_store_dwordx4 off, v[20:23], off offset:396 ; 16-byte Folded Spill
	scratch_load_dword v20, off, off offset:168 ; 4-byte Folded Reload
	s_nop 0
	v_lshlrev_b16_e32 v22, 8, v232
	s_waitcnt vmcnt(2)
	v_lshlrev_b16_e32 v18, 8, v18
	v_lshlrev_b16_e32 v23, 8, v213
	v_mfma_f32_16x16x32_fp8_fp8 a[24:27], v[86:87], v[150:151], a[20:23]
	v_lshlrev_b16_e32 v151, 8, v32
	scratch_load_dword v32, off, off offset:192 ; 4-byte Folded Reload
	v_lshlrev_b16_e32 v150, 8, v223
	v_mfma_f32_16x16x32_fp8_fp8 a[20:23], v[86:87], v[152:153], a[16:19]
	s_waitcnt vmcnt(1)
	v_or_b32_sdwa v18, v20, v18 dst_sel:WORD_1 dst_unused:UNUSED_PAD src0_sel:BYTE_0 src1_sel:DWORD
	s_nop 0
	v_or_b32_sdwa v88, v88, v18 dst_sel:DWORD dst_unused:UNUSED_PAD src0_sel:WORD_0 src1_sel:DWORD
	v_lshlrev_b16_e32 v18, 8, v231
	v_or_b32_sdwa v20, v131, v17 dst_sel:DWORD dst_unused:UNUSED_PAD src0_sel:BYTE_0 src1_sel:DWORD
	v_or_b32_sdwa v17, v133, v22 dst_sel:DWORD dst_unused:UNUSED_PAD src0_sel:BYTE_0 src1_sel:DWORD
	scratch_load_dword v22, off, off offset:228 ; 4-byte Folded Reload
	v_or_b32_sdwa v21, v130, v18 dst_sel:DWORD dst_unused:UNUSED_PAD src0_sel:BYTE_0 src1_sel:DWORD
	v_or_b32_sdwa v18, v132, v23 dst_sel:DWORD dst_unused:UNUSED_PAD src0_sel:BYTE_0 src1_sel:DWORD
	scratch_load_dword v23, off, off offset:224 ; 4-byte Folded Reload
	v_mfma_f32_16x16x32_fp8_fp8 a[16:19], v[86:87], v[154:155], a[12:15]
	v_lshlrev_b16_e32 v133, 8, v186
	v_or_b32_sdwa v133, v58, v133 dst_sel:WORD_1 dst_unused:UNUSED_PAD src0_sel:BYTE_0 src1_sel:DWORD
	scratch_load_dword v58, off, off offset:284 ; 4-byte Folded Reload
	v_mfma_f32_16x16x32_fp8_fp8 a[12:15], v[86:87], v[156:157], a[8:11]
	v_lshlrev_b16_e32 v132, 8, v251
	v_or_b32_sdwa v132, v100, v132 dst_sel:DWORD dst_unused:UNUSED_PAD src0_sel:BYTE_0 src1_sel:DWORD
	s_waitcnt vmcnt(3)
	v_lshlrev_b16_e32 v152, 8, v32
	v_mfma_f32_16x16x32_fp8_fp8 a[12:15], v[88:89], v[120:121], a[12:15]
	scratch_load_dword v120, off, off offset:1060 ; 4-byte Folded Reload
	scratch_load_dword v32, off, off offset:960 ; 4-byte Folded Reload
	v_add_u32_e32 v157, s24, v107
	v_lshlrev_b16_e32 v130, 8, v255
	v_lshlrev_b16_e32 v131, 8, v187
	s_waitcnt vmcnt(4)
	v_lshlrev_b16_e32 v22, 8, v22
	s_waitcnt vmcnt(3)
	v_or_b32_sdwa v60, v23, v22 dst_sel:WORD_1 dst_unused:UNUSED_PAD src0_sel:BYTE_0 src1_sel:DWORD
	scratch_load_dword v22, off, off offset:220 ; 4-byte Folded Reload
	scratch_load_dword v23, off, off offset:236 ; 4-byte Folded Reload
	v_or_b32_sdwa v59, v4, v60 dst_sel:DWORD dst_unused:UNUSED_PAD src0_sel:WORD_0 src1_sel:DWORD
	s_waitcnt vmcnt(3)
	v_add_u32_e32 v19, v19, v120
	ds_write_b128 v19, v[122:125] offset:28800
	v_mfma_f32_16x16x32_fp8_fp8 a[8:11], v[88:89], v[138:139], a[228:231]
	s_waitcnt vmcnt(2)
	v_lshlrev_b16_e32 v153, 8, v32
	scratch_load_dword v32, off, off offset:188 ; 4-byte Folded Reload
	buffer_load_dwordx4 v[122:125], v157, s[4:7], 0 offen
	v_mfma_f32_16x16x32_fp8_fp8 a[20:23], v[88:89], v[128:129], a[20:23]
	s_waitcnt vmcnt(3)
	v_lshlrev_b16_e32 v22, 8, v22
	s_waitcnt vmcnt(2)
	v_or_b32_sdwa v42, v23, v22 dst_sel:WORD_1 dst_unused:UNUSED_PAD src0_sel:BYTE_0 src1_sel:DWORD
	scratch_load_dword v23, off, off offset:340 ; 4-byte Folded Reload
	v_lshlrev_b16_e32 v22, 8, v28
	scratch_load_dword v28, off, off offset:212 ; 4-byte Folded Reload
	v_mfma_f32_16x16x32_fp8_fp8 a[16:19], v[88:89], v[126:127], a[16:19]
	s_waitcnt vmcnt(3)
	v_lshlrev_b16_e32 v154, 8, v32
	v_mfma_f32_16x16x32_fp8_fp8 a[4:7], v[86:87], v[118:119], a[4:7]
	scratch_load_dword v32, off, off offset:956 ; 4-byte Folded Reload
	s_waitcnt vmcnt(2)
	v_or_b32_sdwa v43, v23, v22 dst_sel:WORD_1 dst_unused:UNUSED_PAD src0_sel:BYTE_0 src1_sel:DWORD
	scratch_load_dword v22, off, off offset:336 ; 4-byte Folded Reload
	scratch_load_dword v23, off, off offset:332 ; 4-byte Folded Reload
	v_mfma_f32_16x16x32_fp8_fp8 a[204:207], v[86:87], v[146:147], a[204:207]
	v_lshlrev_b16_e32 v146, 8, v236
	scratch_store_dwordx4 off, v[122:125], off offset:444 ; 16-byte Folded Spill
	v_lshlrev_b16_e32 v147, 8, v221
	v_mfma_f32_16x16x32_fp8_fp8 a[204:207], v[88:89], v[140:141], a[204:207]
	v_or_b32_sdwa v125, v15, v108 dst_sel:DWORD dst_unused:UNUSED_PAD src0_sel:WORD_0 src1_sel:DWORD
	v_or_b32_sdwa v4, v103, v147 dst_sel:DWORD dst_unused:UNUSED_PAD src0_sel:BYTE_0 src1_sel:DWORD
	v_or_b32_sdwa v124, v16, v109 dst_sel:DWORD dst_unused:UNUSED_PAD src0_sel:WORD_0 src1_sel:DWORD
	v_mfma_f32_16x16x32_fp8_fp8 a[32:35], v[48:49], v[138:139], a[32:35]
	v_lshlrev_b16_e32 v139, 8, v250
	v_or_b32_sdwa v100, v58, v139 dst_sel:WORD_1 dst_unused:UNUSED_PAD src0_sel:BYTE_0 src1_sel:DWORD
	scratch_load_dword v58, off, off offset:280 ; 4-byte Folded Reload
	v_mfma_f32_16x16x32_fp8_fp8 a[28:31], v[48:49], v[140:141], a[28:31]
	v_lshlrev_b16_e32 v141, 8, v245
	s_waitcnt vmcnt(4)
	v_lshlrev_b16_e32 v51, 8, v32
	scratch_load_dword v32, off, off offset:184 ; 4-byte Folded Reload
	v_mfma_f32_16x16x32_fp8_fp8 a[108:111], v[48:49], v[128:129], a[108:111]
	v_lshlrev_b16_e32 v138, 8, v249
	v_lshlrev_b16_e32 v140, 8, v244
	v_or_b32_sdwa v91, v91, v138 dst_sel:DWORD dst_unused:UNUSED_PAD src0_sel:BYTE_0 src1_sel:DWORD
	v_or_b32_sdwa v90, v90, v140 dst_sel:DWORD dst_unused:UNUSED_PAD src0_sel:BYTE_0 src1_sel:DWORD
	;; [unrolled: 1-line block ×3, first 2 shown]
	v_or_b32_sdwa v122, v18, v33 dst_sel:DWORD dst_unused:UNUSED_PAD src0_sel:WORD_0 src1_sel:DWORD
	v_or_b32_sdwa v18, v77, v51 dst_sel:DWORD dst_unused:UNUSED_PAD src0_sel:BYTE_0 src1_sel:DWORD
	s_waitcnt vmcnt(4)
	v_lshlrev_b16_e32 v22, 8, v22
	s_waitcnt vmcnt(3)
	v_or_b32_sdwa v47, v23, v22 dst_sel:WORD_1 dst_unused:UNUSED_PAD src0_sel:BYTE_0 src1_sel:DWORD
	scratch_load_dword v22, off, off offset:208 ; 4-byte Folded Reload
	scratch_load_dword v23, off, off offset:232 ; 4-byte Folded Reload
	v_or_b32_sdwa v184, v8, v47 dst_sel:DWORD dst_unused:UNUSED_PAD src0_sel:WORD_0 src1_sel:DWORD
	v_or_b32_sdwa v8, v102, v149 dst_sel:DWORD dst_unused:UNUSED_PAD src0_sel:BYTE_0 src1_sel:DWORD
	s_waitcnt vmcnt(3)
	v_or_b32_sdwa v128, v58, v141 dst_sel:WORD_1 dst_unused:UNUSED_PAD src0_sel:BYTE_0 src1_sel:DWORD
	scratch_load_dword v58, off, off offset:276 ; 4-byte Folded Reload
	s_waitcnt vmcnt(3)
	v_lshlrev_b16_e32 v50, 8, v32
	scratch_load_dword v32, off, off offset:952 ; 4-byte Folded Reload
	s_waitcnt vmcnt(3)
	v_lshlrev_b16_e32 v22, 8, v22
	s_waitcnt vmcnt(2)
	v_or_b32_sdwa v22, v23, v22 dst_sel:WORD_1 dst_unused:UNUSED_PAD src0_sel:BYTE_0 src1_sel:DWORD
	scratch_load_dword v23, off, off offset:216 ; 4-byte Folded Reload
	s_waitcnt vmcnt(2)
	v_or_b32_sdwa v126, v58, v144 dst_sel:WORD_1 dst_unused:UNUSED_PAD src0_sel:BYTE_0 src1_sel:DWORD
	scratch_load_dword v58, off, off offset:268 ; 4-byte Folded Reload
	v_or_b32_sdwa v99, v95, v126 dst_sel:DWORD dst_unused:UNUSED_PAD src0_sel:WORD_0 src1_sel:DWORD
	s_waitcnt vmcnt(1)
	v_lshlrev_b16_e32 v23, 8, v23
	v_or_b32_sdwa v23, v28, v23 dst_sel:WORD_1 dst_unused:UNUSED_PAD src0_sel:BYTE_0 src1_sel:DWORD
	scratch_load_dword v28, off, off offset:320 ; 4-byte Folded Reload
	v_or_b32_sdwa v2, v2, v23 dst_sel:DWORD dst_unused:UNUSED_PAD src0_sel:WORD_0 src1_sel:DWORD
	scratch_load_dword v23, off, off offset:1076 ; 4-byte Folded Reload
	s_waitcnt vmcnt(2)
	v_or_b32_sdwa v118, v58, v146 dst_sel:WORD_1 dst_unused:UNUSED_PAD src0_sel:BYTE_0 src1_sel:DWORD
	v_or_b32_sdwa v58, v3, v42 dst_sel:DWORD dst_unused:UNUSED_PAD src0_sel:WORD_0 src1_sel:DWORD
	scratch_load_dword v3, off, off offset:164 ; 4-byte Folded Reload
	s_waitcnt vmcnt(2)
	v_or_b32_sdwa v30, v28, v30 dst_sel:WORD_1 dst_unused:UNUSED_PAD src0_sel:BYTE_0 src1_sel:DWORD
	scratch_load_dword v28, off, off offset:308 ; 4-byte Folded Reload
	v_or_b32_sdwa v183, v5, v30 dst_sel:DWORD dst_unused:UNUSED_PAD src0_sel:WORD_0 src1_sel:DWORD
	scratch_load_dword v5, off, off offset:148 ; 4-byte Folded Reload
	s_waitcnt vmcnt(2)
	v_or_b32_sdwa v15, v3, v152 dst_sel:WORD_1 dst_unused:UNUSED_PAD src0_sel:BYTE_0 src1_sel:DWORD
	scratch_load_dword v3, off, off offset:156 ; 4-byte Folded Reload
	s_waitcnt vmcnt(2)
	v_lshlrev_b16_e32 v34, 8, v28
	scratch_load_dword v28, off, off offset:300 ; 4-byte Folded Reload
	s_waitcnt vmcnt(0)
	v_or_b32_sdwa v34, v28, v34 dst_sel:WORD_1 dst_unused:UNUSED_PAD src0_sel:BYTE_0 src1_sel:DWORD
	scratch_load_dword v28, off, off offset:324 ; 4-byte Folded Reload
	s_waitcnt vmcnt(0)
	v_lshlrev_b16_e32 v35, 8, v28
	scratch_load_dword v28, off, off offset:328 ; 4-byte Folded Reload
	s_waitcnt vmcnt(0)
	v_or_b32_sdwa v61, v28, v35 dst_sel:WORD_1 dst_unused:UNUSED_PAD src0_sel:BYTE_0 src1_sel:DWORD
	scratch_load_dword v28, off, off offset:316 ; 4-byte Folded Reload
	v_or_b32_sdwa v107, v10, v61 dst_sel:DWORD dst_unused:UNUSED_PAD src0_sel:WORD_0 src1_sel:DWORD
	v_or_b32_sdwa v10, v246, v150 dst_sel:WORD_1 dst_unused:UNUSED_PAD src0_sel:BYTE_0 src1_sel:DWORD
	s_waitcnt vmcnt(0)
	v_lshlrev_b16_e32 v35, 8, v28
	scratch_load_dword v28, off, off offset:312 ; 4-byte Folded Reload
	s_waitcnt vmcnt(0)
	v_or_b32_sdwa v106, v28, v35 dst_sel:WORD_1 dst_unused:UNUSED_PAD src0_sel:BYTE_0 src1_sel:DWORD
	v_lshlrev_b16_e32 v28, 8, v182
	v_or_b32_sdwa v114, v52, v28 dst_sel:WORD_1 dst_unused:UNUSED_PAD src0_sel:BYTE_0 src1_sel:DWORD
	scratch_load_dword v52, off, off offset:1004 ; 4-byte Folded Reload
	v_lshlrev_b16_e32 v35, 8, v25
	scratch_load_dword v25, off, off offset:304 ; 4-byte Folded Reload
	v_or_b32_sdwa v115, v20, v114 dst_sel:DWORD dst_unused:UNUSED_PAD src0_sel:WORD_0 src1_sel:DWORD
	v_or_b32_sdwa v114, v21, v116 dst_sel:DWORD dst_unused:UNUSED_PAD src0_sel:WORD_0 src1_sel:DWORD
	v_or_b32_sdwa v20, v3, v154 dst_sel:WORD_1 dst_unused:UNUSED_PAD src0_sel:BYTE_0 src1_sel:DWORD
	v_or_b32_sdwa v3, v1, v22 dst_sel:DWORD dst_unused:UNUSED_PAD src0_sel:WORD_0 src1_sel:DWORD
	v_or_b32_sdwa v182, v6, v34 dst_sel:DWORD dst_unused:UNUSED_PAD src0_sel:WORD_0 src1_sel:DWORD
	scratch_load_dword v21, off, off offset:1064 ; 4-byte Folded Reload
	v_or_b32_sdwa v116, v98, v41 dst_sel:DWORD dst_unused:UNUSED_PAD src0_sel:WORD_0 src1_sel:DWORD
	v_or_b32_sdwa v106, v11, v106 dst_sel:DWORD dst_unused:UNUSED_PAD src0_sel:WORD_0 src1_sel:DWORD
	v_or_b32_sdwa v11, v75, v151 dst_sel:DWORD dst_unused:UNUSED_PAD src0_sel:BYTE_0 src1_sel:DWORD
	v_or_b32_sdwa v35, v26, v35 dst_sel:WORD_1 dst_unused:UNUSED_PAD src0_sel:BYTE_0 src1_sel:DWORD
	v_lshlrev_b16_e32 v26, 8, v243
	v_lshlrev_b16_e32 v28, 8, v45
	v_or_b32_sdwa v75, v9, v35 dst_sel:DWORD dst_unused:UNUSED_PAD src0_sel:WORD_0 src1_sel:DWORD
	v_add_u32_e32 v9, s24, v157
	v_or_b32_sdwa v98, v94, v118 dst_sel:DWORD dst_unused:UNUSED_PAD src0_sel:WORD_0 src1_sel:DWORD
	v_lshlrev_b16_e32 v45, 8, v220
	scratch_load_dword v22, off, off offset:1072 ; 4-byte Folded Reload
	s_waitcnt vmcnt(3)
	v_lshlrev_b16_e32 v155, 8, v52
	scratch_load_dword v52, off, off offset:172 ; 4-byte Folded Reload
	s_waitcnt vmcnt(3)
	v_or_b32_sdwa v36, v25, v36 dst_sel:WORD_1 dst_unused:UNUSED_PAD src0_sel:BYTE_0 src1_sel:DWORD
	v_lshlrev_b16_e32 v25, 8, v201
	v_or_b32_sdwa v1, v71, v155 dst_sel:DWORD dst_unused:UNUSED_PAD src0_sel:BYTE_0 src1_sel:DWORD
	v_or_b32_sdwa v27, v185, v25 dst_sel:WORD_1 dst_unused:UNUSED_PAD src0_sel:BYTE_0 src1_sel:DWORD
	v_or_b32_sdwa v185, v7, v43 dst_sel:DWORD dst_unused:UNUSED_PAD src0_sel:WORD_0 src1_sel:DWORD
	scratch_load_dwordx4 v[40:43], off, off offset:412 ; 16-byte Folded Reload
	v_or_b32_sdwa v7, v253, v148 dst_sel:WORD_1 dst_unused:UNUSED_PAD src0_sel:BYTE_0 src1_sel:DWORD
	v_or_b32_sdwa v74, v12, v36 dst_sel:DWORD dst_unused:UNUSED_PAD src0_sel:WORD_0 src1_sel:DWORD
	s_waitcnt vmcnt(3)
	v_add_u32_e32 v12, v19, v21
	v_lshlrev_b16_e32 v25, 8, v242
	scratch_load_dword v19, off, off offset:152 ; 4-byte Folded Reload
	v_or_b32_sdwa v123, v17, v27 dst_sel:DWORD dst_unused:UNUSED_PAD src0_sel:WORD_0 src1_sel:DWORD
	v_or_b32_sdwa v17, v212, v45 dst_sel:WORD_1 dst_unused:UNUSED_PAD src0_sel:BYTE_0 src1_sel:DWORD
	s_waitcnt vmcnt(2)
	v_lshlrev_b16_e32 v156, 8, v52
	scratch_load_dword v52, off, off offset:988 ; 4-byte Folded Reload
	v_or_b32_sdwa v6, v5, v156 dst_sel:WORD_1 dst_unused:UNUSED_PAD src0_sel:BYTE_0 src1_sel:DWORD
	v_or_b32_sdwa v5, v11, v15 dst_sel:DWORD dst_unused:UNUSED_PAD src0_sel:WORD_0 src1_sel:DWORD
	v_or_b32_sdwa v103, v1, v6 dst_sel:DWORD dst_unused:UNUSED_PAD src0_sel:WORD_0 src1_sel:DWORD
	scratch_load_dword v1, off, off offset:256 ; 4-byte Folded Reload
	v_or_b32_sdwa v6, v92, v25 dst_sel:DWORD dst_unused:UNUSED_PAD src0_sel:BYTE_0 src1_sel:DWORD
	v_or_b32_sdwa v11, v96, v39 dst_sel:DWORD dst_unused:UNUSED_PAD src0_sel:BYTE_0 src1_sel:DWORD
	s_waitcnt vmcnt(2)
	v_or_b32_sdwa v19, v19, v50 dst_sel:WORD_1 dst_unused:UNUSED_PAD src0_sel:BYTE_0 src1_sel:DWORD
	s_waitcnt vmcnt(1)
	v_lshlrev_b16_e32 v54, 8, v52
	scratch_load_dword v52, off, off offset:176 ; 4-byte Folded Reload
	s_waitcnt vmcnt(1)
	v_or_b32_sdwa v1, v1, v24 dst_sel:WORD_1 dst_unused:UNUSED_PAD src0_sel:BYTE_0 src1_sel:DWORD
	scratch_load_dword v24, off, off offset:1080 ; 4-byte Folded Reload
	s_waitcnt vmcnt(1)
	v_lshlrev_b16_e32 v57, 8, v52
	v_or_b32_sdwa v52, v101, v130 dst_sel:DWORD dst_unused:UNUSED_PAD src0_sel:BYTE_0 src1_sel:DWORD
	v_or_b32_sdwa v101, v91, v100 dst_sel:DWORD dst_unused:UNUSED_PAD src0_sel:WORD_0 src1_sel:DWORD
	v_or_b32_sdwa v100, v90, v128 dst_sel:DWORD dst_unused:UNUSED_PAD src0_sel:WORD_0 src1_sel:DWORD
	;; [unrolled: 1-line block ×3, first 2 shown]
	scratch_load_dword v8, off, off offset:136 ; 4-byte Folded Reload
	v_or_b32_sdwa v91, v4, v7 dst_sel:DWORD dst_unused:UNUSED_PAD src0_sel:WORD_0 src1_sel:DWORD
	v_or_b32_sdwa v4, v16, v20 dst_sel:DWORD dst_unused:UNUSED_PAD src0_sel:WORD_0 src1_sel:DWORD
	v_or_b32_sdwa v7, v70, v54 dst_sel:DWORD dst_unused:UNUSED_PAD src0_sel:BYTE_0 src1_sel:DWORD
	scratch_load_dword v10, off, off offset:244 ; 4-byte Folded Reload
	v_mfma_f32_16x16x32_fp8_fp8 a[96:99], v[4:5], v[124:125], a[96:99]
	v_or_b32_sdwa v130, v14, v29 dst_sel:DWORD dst_unused:UNUSED_PAD src0_sel:WORD_0 src1_sel:DWORD
	v_or_b32_sdwa v16, v104, v44 dst_sel:DWORD dst_unused:UNUSED_PAD src0_sel:BYTE_0 src1_sel:DWORD
	v_or_b32_sdwa v104, v132, v133 dst_sel:DWORD dst_unused:UNUSED_PAD src0_sel:WORD_0 src1_sel:DWORD
	v_mfma_f32_16x16x32_fp8_fp8 a[92:95], v[4:5], v[114:115], a[92:95]
	v_or_b32_sdwa v94, v16, v17 dst_sel:DWORD dst_unused:UNUSED_PAD src0_sel:WORD_0 src1_sel:DWORD
	s_waitcnt vmcnt(1)
	v_or_b32_sdwa v8, v8, v57 dst_sel:WORD_1 dst_unused:UNUSED_PAD src0_sel:BYTE_0 src1_sel:DWORD
	v_mfma_f32_16x16x32_fp8_fp8 a[80:83], v[4:5], v[116:117], a[80:83]
	ds_write_b128 v12, v[40:43] offset:28800
	v_or_b32_sdwa v102, v7, v8 dst_sel:DWORD dst_unused:UNUSED_PAD src0_sel:WORD_0 src1_sel:DWORD
	scratch_load_dword v7, off, off offset:248 ; 4-byte Folded Reload
	v_mfma_f32_16x16x32_fp8_fp8 a[104:107], v[48:49], v[134:135], a[104:107]
	v_or_b32_sdwa v8, v97, v37 dst_sel:DWORD dst_unused:UNUSED_PAD src0_sel:BYTE_0 src1_sel:DWORD
	v_or_b32_sdwa v97, v93, v1 dst_sel:DWORD dst_unused:UNUSED_PAD src0_sel:WORD_0 src1_sel:DWORD
	scratch_load_dword v1, off, off offset:160 ; 4-byte Folded Reload
	v_mfma_f32_16x16x32_fp8_fp8 a[120:123], v[48:49], v[110:111], a[120:123]
	buffer_load_dwordx4 v[40:43], v9, s[4:7], 0 offen
	s_waitcnt vmcnt(3)
	v_or_b32_sdwa v10, v10, v38 dst_sel:WORD_1 dst_unused:UNUSED_PAD src0_sel:BYTE_0 src1_sel:DWORD
	s_waitcnt vmcnt(2)
	v_or_b32_sdwa v7, v7, v26 dst_sel:WORD_1 dst_unused:UNUSED_PAD src0_sel:BYTE_0 src1_sel:DWORD
	v_mfma_f32_16x16x32_fp8_fp8 a[124:127], v[48:49], v[136:137], a[124:127]
	v_lshlrev_b16_e32 v49, 8, v46
	v_lshlrev_b16_e32 v46, 8, v32
	scratch_load_dword v32, off, off offset:180 ; 4-byte Folded Reload
	v_lshlrev_b16_e32 v48, 8, v53
	v_or_b32_sdwa v53, v237, v131 dst_sel:WORD_1 dst_unused:UNUSED_PAD src0_sel:BYTE_0 src1_sel:DWORD
	v_or_b32_sdwa v131, v13, v31 dst_sel:DWORD dst_unused:UNUSED_PAD src0_sel:WORD_0 src1_sel:DWORD
	scratch_load_dword v13, off, off offset:240 ; 4-byte Folded Reload
	v_or_b32_sdwa v20, v76, v46 dst_sel:DWORD dst_unused:UNUSED_PAD src0_sel:BYTE_0 src1_sel:DWORD
	v_or_b32_sdwa v96, v6, v7 dst_sel:DWORD dst_unused:UNUSED_PAD src0_sel:WORD_0 src1_sel:DWORD
	v_or_b32_sdwa v93, v8, v10 dst_sel:DWORD dst_unused:UNUSED_PAD src0_sel:WORD_0 src1_sel:DWORD
	s_waitcnt vmcnt(2)
	scratch_store_dwordx4 off, v[40:43], off offset:412 ; 16-byte Folded Spill
	v_add_u32_e32 v8, s24, v9
	v_or_b32_sdwa v14, v105, v48 dst_sel:DWORD dst_unused:UNUSED_PAD src0_sel:BYTE_0 src1_sel:DWORD
	v_or_b32_sdwa v105, v52, v53 dst_sel:DWORD dst_unused:UNUSED_PAD src0_sel:WORD_0 src1_sel:DWORD
	v_or_b32_sdwa v7, v18, v19 dst_sel:DWORD dst_unused:UNUSED_PAD src0_sel:WORD_0 src1_sel:DWORD
	v_or_b32_sdwa v15, v235, v49 dst_sel:WORD_1 dst_unused:UNUSED_PAD src0_sel:BYTE_0 src1_sel:DWORD
	scratch_load_dword v9, off, off offset:928 ; 4-byte Folded Reload
	v_or_b32_sdwa v95, v14, v15 dst_sel:DWORD dst_unused:UNUSED_PAD src0_sel:WORD_0 src1_sel:DWORD
	scratch_load_dwordx4 v[16:19], off, off offset:476 ; 16-byte Folded Reload
	v_mfma_f32_16x16x32_fp8_fp8 a[204:207], v[102:103], v[184:185], a[204:207]
	s_waitcnt vmcnt(4)
	v_lshlrev_b16_e32 v32, 8, v32
	v_or_b32_sdwa v1, v1, v32 dst_sel:WORD_1 dst_unused:UNUSED_PAD src0_sel:BYTE_0 src1_sel:DWORD
	s_waitcnt vmcnt(3)
	v_or_b32_sdwa v13, v13, v28 dst_sel:WORD_1 dst_unused:UNUSED_PAD src0_sel:BYTE_0 src1_sel:DWORD
	v_or_b32_sdwa v6, v20, v1 dst_sel:DWORD dst_unused:UNUSED_PAD src0_sel:WORD_0 src1_sel:DWORD
	scratch_load_dword v20, off, off offset:1068 ; 4-byte Folded Reload
	v_or_b32_sdwa v92, v11, v13 dst_sel:DWORD dst_unused:UNUSED_PAD src0_sel:WORD_0 src1_sel:DWORD
	s_waitcnt vmcnt(2)
	v_lshlrev_b16_e32 v9, 8, v9
	v_or_b32_sdwa v9, v72, v9 dst_sel:DWORD dst_unused:UNUSED_PAD src0_sel:BYTE_0 src1_sel:DWORD
	s_waitcnt vmcnt(0)
	v_add_u32_e32 v1, v12, v20
	scratch_load_dwordx4 v[10:13], off, off offset:428 ; 16-byte Folded Reload
	s_waitcnt vmcnt(0)
	ds_write_b128 v1, v[10:13] offset:28800
	buffer_load_dwordx4 v[10:13], v8, s[4:7], 0 offen
	v_mfma_f32_16x16x32_fp8_fp8 a[132:135], v[58:59], v[116:117], a[132:135]
	v_add_u32_e32 v1, v1, v22
	s_waitcnt vmcnt(0)
	scratch_store_dwordx4 off, v[10:13], off offset:428 ; 16-byte Folded Spill
	v_mfma_f32_16x16x32_fp8_fp8 a[252:255], v[58:59], v[114:115], a[156:159]
	scratch_load_dword v11, off, off offset:100 ; 4-byte Folded Reload
	scratch_load_dword v10, off, off offset:88 ; 4-byte Folded Reload
	scratch_load_dwordx4 v[12:15], off, off offset:460 ; 16-byte Folded Reload
	v_mfma_f32_16x16x32_fp8_fp8 a[144:147], v[58:59], v[184:185], a[144:147]
	s_waitcnt vmcnt(1)
	v_lshlrev_b16_e32 v10, 8, v10
	v_mfma_f32_16x16x32_fp8_fp8 a[156:159], v[2:3], v[182:183], a[144:147]
	v_mfma_f32_16x16x32_fp8_fp8 a[144:147], v[2:3], v[122:123], a[252:255]
	;; [unrolled: 1-line block ×16, first 2 shown]
	scratch_load_dword v3, off, off offset:112 ; 4-byte Folded Reload
	scratch_load_dword v2, off, off offset:932 ; 4-byte Folded Reload
	s_waitcnt vmcnt(1)
	v_lshlrev_b16_e32 v3, 8, v3
	v_or_b32_sdwa v3, v11, v3 dst_sel:WORD_1 dst_unused:UNUSED_PAD src0_sel:BYTE_0 src1_sel:DWORD
	scratch_load_dword v11, off, off offset:76 ; 4-byte Folded Reload
	s_waitcnt vmcnt(1)
	v_lshlrev_b16_e32 v2, 8, v2
	v_or_b32_sdwa v2, v73, v2 dst_sel:DWORD dst_unused:UNUSED_PAD src0_sel:BYTE_0 src1_sel:DWORD
	v_or_b32_sdwa v187, v2, v3 dst_sel:DWORD dst_unused:UNUSED_PAD src0_sel:WORD_0 src1_sel:DWORD
	scratch_load_dword v3, off, off offset:144 ; 4-byte Folded Reload
	v_mfma_f32_16x16x32_fp8_fp8 a[252:255], v[4:5], v[90:91], a[116:119]
	scratch_load_dword v2, off, off offset:744 ; 4-byte Folded Reload
	s_waitcnt vmcnt(2)
	v_or_b32_sdwa v10, v11, v10 dst_sel:WORD_1 dst_unused:UNUSED_PAD src0_sel:BYTE_0 src1_sel:DWORD
	s_nop 0
	v_or_b32_sdwa v186, v9, v10 dst_sel:DWORD dst_unused:UNUSED_PAD src0_sel:WORD_0 src1_sel:DWORD
	scratch_load_dword v9, off, off offset:92 ; 4-byte Folded Reload
	v_mfma_f32_16x16x32_fp8_fp8 a[224:227], v[4:5], v[106:107], a[88:91]
	s_waitcnt vmcnt(2)
	v_lshlrev_b16_e32 v3, 8, v3
	s_waitcnt vmcnt(1)
	v_lshlrev_b16_e32 v2, 8, v2
	v_mfma_f32_16x16x32_fp8_fp8 a[84:87], v[4:5], v[184:185], a[84:87]
	v_or_b32_sdwa v2, v83, v2 dst_sel:DWORD dst_unused:UNUSED_PAD src0_sel:BYTE_0 src1_sel:DWORD
	s_waitcnt vmcnt(0)
	v_or_b32_sdwa v3, v9, v3 dst_sel:WORD_1 dst_unused:UNUSED_PAD src0_sel:BYTE_0 src1_sel:DWORD
	v_mfma_f32_16x16x32_fp8_fp8 a[88:91], v[6:7], v[182:183], a[84:87]
	scratch_load_dword v9, off, off offset:84 ; 4-byte Folded Reload
	v_or_b32_sdwa v3, v2, v3 dst_sel:DWORD dst_unused:UNUSED_PAD src0_sel:WORD_0 src1_sel:DWORD
	v_mfma_f32_16x16x32_fp8_fp8 a[84:87], v[6:7], v[74:75], a[224:227]
	v_mfma_f32_16x16x32_fp8_fp8 a[224:227], v[4:5], v[100:101], a[100:103]
	scratch_load_dword v4, off, off offset:740 ; 4-byte Folded Reload
	scratch_load_dword v5, off, off offset:104 ; 4-byte Folded Reload
	s_waitcnt vmcnt(1)
	v_lshlrev_b16_e32 v4, 8, v4
	s_waitcnt vmcnt(0)
	v_lshlrev_b16_e32 v5, 8, v5
	v_or_b32_sdwa v4, v82, v4 dst_sel:DWORD dst_unused:UNUSED_PAD src0_sel:BYTE_0 src1_sel:DWORD
	v_or_b32_sdwa v5, v9, v5 dst_sel:WORD_1 dst_unused:UNUSED_PAD src0_sel:BYTE_0 src1_sel:DWORD
	v_mfma_f32_16x16x32_fp8_fp8 a[100:103], v[6:7], v[104:105], a[80:83]
	v_or_b32_sdwa v2, v4, v5 dst_sel:DWORD dst_unused:UNUSED_PAD src0_sel:WORD_0 src1_sel:DWORD
	v_mfma_f32_16x16x32_fp8_fp8 a[80:83], v[6:7], v[94:95], a[252:255]
	v_mfma_f32_16x16x32_fp8_fp8 a[116:119], v[6:7], v[130:131], a[96:99]
	;; [unrolled: 1-line block ×3, first 2 shown]
	scratch_load_dwordx4 v[4:7], off, off offset:544 ; 16-byte Folded Reload
	s_waitcnt vmcnt(0)
	ds_write_b128 v1, v[4:7] offset:28800
	v_add_u32_e32 v6, s24, v8
	buffer_load_dwordx4 v[8:11], v6, s[4:7], 0 offen
	scratch_load_dword v5, off, off offset:80 ; 4-byte Folded Reload
	scratch_load_dword v4, off, off offset:724 ; 4-byte Folded Reload
	scratch_load_dword v7, off, off offset:712 ; 4-byte Folded Reload
	v_add_u32_e32 v1, v1, v23
	ds_write_b128 v1, v[12:15] offset:28800
	v_add_u32_e32 v6, s24, v6
	v_add_u32_e32 v1, v1, v24
	ds_write_b128 v1, v[16:19] offset:28800
	scratch_load_dword v1, off, off offset:20 ; 4-byte Folded Reload
	v_mfma_f32_16x16x32_fp8_fp8 a[40:43], v[2:3], v[98:99], a[40:43]
	; sched_group_barrier mask(0x00000200) size(1) SyncID(0)
	; sched_group_barrier mask(0x00000008) size(1) SyncID(0)
	;; [unrolled: 1-line block ×7, first 2 shown]
	s_waitcnt vmcnt(4)
	scratch_store_dwordx4 off, v[8:11], off offset:544 ; 16-byte Folded Spill
	scratch_load_dword v9, off, off offset:72 ; 4-byte Folded Reload
	s_waitcnt vmcnt(5)
	v_lshlrev_b16_e32 v5, 8, v5
	scratch_load_dword v8, off, off offset:68 ; 4-byte Folded Reload
	s_waitcnt vmcnt(5)
	v_lshlrev_b16_e32 v4, 8, v4
	s_waitcnt vmcnt(4)
	v_lshlrev_b16_e32 v7, 8, v7
	v_or_b32_sdwa v4, v85, v4 dst_sel:DWORD dst_unused:UNUSED_PAD src0_sel:BYTE_0 src1_sel:DWORD
	v_or_b32_sdwa v7, v84, v7 dst_sel:DWORD dst_unused:UNUSED_PAD src0_sel:BYTE_0 src1_sel:DWORD
	scratch_load_dword v11, off, off offset:56 ; 4-byte Folded Reload
	scratch_load_dword v10, off, off offset:52 ; 4-byte Folded Reload
	buffer_load_dwordx4 v[12:15], v6, s[4:7], 0 offen
	s_waitcnt vmcnt(6)
	v_lshlrev_b16_e32 v16, 8, v1
	v_add_u32_e32 v1, s24, v6
	v_mfma_f32_16x16x32_fp8_fp8 a[52:55], v[2:3], v[124:125], a[52:55]
	s_waitcnt vmcnt(4)
	v_or_b32_sdwa v5, v9, v5 dst_sel:WORD_1 dst_unused:UNUSED_PAD src0_sel:BYTE_0 src1_sel:DWORD
	scratch_load_dword v9, off, off offset:64 ; 4-byte Folded Reload
	s_waitcnt vmcnt(4)
	v_lshlrev_b16_e32 v8, 8, v8
	v_or_b32_sdwa v5, v4, v5 dst_sel:DWORD dst_unused:UNUSED_PAD src0_sel:WORD_0 src1_sel:DWORD
	v_mfma_f32_16x16x32_fp8_fp8 a[224:227], v[2:3], v[114:115], a[60:63]
	s_waitcnt vmcnt(2)
	v_lshlrev_b16_e32 v10, 8, v10
	s_waitcnt vmcnt(1)
	scratch_store_dwordx4 off, v[12:15], off offset:460 ; 16-byte Folded Spill
	buffer_load_dwordx4 v[26:29], v1, s[4:7], 0 offen
	v_mfma_f32_16x16x32_fp8_fp8 a[204:207], v[186:187], v[182:183], a[204:207]
	scratch_load_dword v1, off, off offset:672 ; 4-byte Folded Reload
	scratch_load_dword v12, off, off offset:132 ; 4-byte Folded Reload
	;; [unrolled: 1-line block ×5, first 2 shown]
	s_waitcnt vmcnt(7)
	v_or_b32_sdwa v8, v9, v8 dst_sel:WORD_1 dst_unused:UNUSED_PAD src0_sel:BYTE_0 src1_sel:DWORD
	s_nop 0
	v_or_b32_sdwa v4, v7, v8 dst_sel:DWORD dst_unused:UNUSED_PAD src0_sel:WORD_0 src1_sel:DWORD
	scratch_load_dword v8, off, off offset:60 ; 4-byte Folded Reload
	scratch_load_dword v9, off, off offset:704 ; 4-byte Folded Reload
	v_mfma_f32_16x16x32_fp8_fp8 a[60:63], v[4:5], v[130:131], a[52:55]
	scratch_load_dword v7, off, off offset:708 ; 4-byte Folded Reload
	s_waitcnt vmcnt(7)
	v_lshlrev_b16_e32 v6, 8, v1
	v_mfma_f32_16x16x32_fp8_fp8 a[52:55], v[4:5], v[122:123], a[224:227]
	scratch_store_dwordx4 off, v[26:29], off offset:476 ; 16-byte Folded Spill
	s_waitcnt vmcnt(6)
	v_lshlrev_b16_e32 v13, 8, v13
	s_waitcnt vmcnt(5)
	v_lshlrev_b16_e32 v14, 8, v14
	v_mfma_f32_16x16x32_fp8_fp8 a[224:227], v[2:3], v[90:91], a[56:59]
	s_waitcnt vmcnt(4)
	v_lshlrev_b16_e32 v15, 8, v15
	s_waitcnt vmcnt(3)
	v_lshlrev_b16_e32 v8, 8, v8
	v_or_b32_sdwa v8, v11, v8 dst_sel:WORD_1 dst_unused:UNUSED_PAD src0_sel:BYTE_0 src1_sel:DWORD
	scratch_load_dword v11, off, off offset:48 ; 4-byte Folded Reload
	s_waitcnt vmcnt(3)
	v_lshlrev_b16_e32 v9, 8, v9
	v_or_b32_sdwa v9, v78, v9 dst_sel:DWORD dst_unused:UNUSED_PAD src0_sel:BYTE_0 src1_sel:DWORD
	v_mfma_f32_16x16x32_fp8_fp8 a[48:51], v[2:3], v[184:185], a[48:51]
	s_waitcnt vmcnt(2)
	v_lshlrev_b16_e32 v7, 8, v7
	v_or_b32_sdwa v7, v79, v7 dst_sel:DWORD dst_unused:UNUSED_PAD src0_sel:BYTE_0 src1_sel:DWORD
	v_or_b32_sdwa v73, v7, v8 dst_sel:DWORD dst_unused:UNUSED_PAD src0_sel:WORD_0 src1_sel:DWORD
	v_mfma_f32_16x16x32_fp8_fp8 a[44:47], v[2:3], v[106:107], a[44:47]
	scratch_load_dword v7, off, off offset:696 ; 4-byte Folded Reload
	scratch_load_dword v8, off, off offset:128 ; 4-byte Folded Reload
	s_waitcnt vmcnt(2)
	v_or_b32_sdwa v10, v11, v10 dst_sel:WORD_1 dst_unused:UNUSED_PAD src0_sel:BYTE_0 src1_sel:DWORD
	s_nop 0
	v_or_b32_sdwa v72, v9, v10 dst_sel:DWORD dst_unused:UNUSED_PAD src0_sel:WORD_0 src1_sel:DWORD
	scratch_load_dword v9, off, off offset:832 ; 4-byte Folded Reload
	scratch_load_dword v10, off, off offset:124 ; 4-byte Folded Reload
	v_mfma_f32_16x16x32_fp8_fp8 a[228:231], v[2:3], v[116:117], a[64:67]
	scratch_load_dword v11, off, off offset:820 ; 4-byte Folded Reload
	s_waitcnt vmcnt(4)
	v_lshlrev_b16_e32 v7, 8, v7
	v_mfma_f32_16x16x32_fp8_fp8 a[236:239], v[102:103], v[114:115], a[20:23]
	s_waitcnt vmcnt(3)
	v_lshlrev_b16_e32 v8, 8, v8
	v_or_b32_sdwa v7, v80, v7 dst_sel:DWORD dst_unused:UNUSED_PAD src0_sel:BYTE_0 src1_sel:DWORD
	s_waitcnt vmcnt(2)
	v_lshlrev_b16_e32 v9, 8, v9
	v_or_b32_sdwa v1, v67, v9 dst_sel:DWORD dst_unused:UNUSED_PAD src0_sel:BYTE_0 src1_sel:DWORD
	scratch_load_dword v9, off, off offset:44 ; 4-byte Folded Reload
	v_mfma_f32_16x16x32_fp8_fp8 a[240:243], v[102:103], v[116:117], a[16:19]
	s_waitcnt vmcnt(2)
	v_lshlrev_b16_e32 v10, 8, v10
	s_waitcnt vmcnt(1)
	v_lshlrev_b16_e32 v11, 8, v11
	s_waitcnt vmcnt(0)
	v_or_b32_sdwa v9, v9, v10 dst_sel:WORD_1 dst_unused:UNUSED_PAD src0_sel:BYTE_0 src1_sel:DWORD
	v_mfma_f32_16x16x32_fp8_fp8 a[16:19], v[186:187], v[122:123], a[236:239]
	v_or_b32_sdwa v67, v1, v9 dst_sel:DWORD dst_unused:UNUSED_PAD src0_sel:WORD_0 src1_sel:DWORD
	scratch_load_dword v1, off, off offset:12 ; 4-byte Folded Reload
	v_or_b32_sdwa v10, v66, v11 dst_sel:DWORD dst_unused:UNUSED_PAD src0_sel:BYTE_0 src1_sel:DWORD
	v_mfma_f32_16x16x32_fp8_fp8 a[236:239], v[2:3], v[100:101], a[68:71]
	scratch_load_dword v2, off, off offset:824 ; 4-byte Folded Reload
	scratch_load_dword v3, off, off offset:140 ; 4-byte Folded Reload
	;; [unrolled: 1-line block ×3, first 2 shown]
	s_waitcnt vmcnt(3)
	v_lshlrev_b16_e32 v9, 8, v1
	scratch_load_dword v1, off, off offset:1056 ; 4-byte Folded Reload
	s_waitcnt vmcnt(3)
	v_lshlrev_b16_e32 v2, 8, v2
	s_waitcnt vmcnt(2)
	v_lshlrev_b16_e32 v3, 8, v3
	v_or_b32_sdwa v2, v81, v2 dst_sel:DWORD dst_unused:UNUSED_PAD src0_sel:BYTE_0 src1_sel:DWORD
	v_or_b32_sdwa v3, v12, v3 dst_sel:WORD_1 dst_unused:UNUSED_PAD src0_sel:BYTE_0 src1_sel:DWORD
	scratch_load_dword v12, off, off offset:120 ; 4-byte Folded Reload
	v_or_b32_sdwa v71, v2, v3 dst_sel:DWORD dst_unused:UNUSED_PAD src0_sel:WORD_0 src1_sel:DWORD
	scratch_load_dword v2, off, off offset:108 ; 4-byte Folded Reload
	scratch_load_dword v3, off, off offset:828 ; 4-byte Folded Reload
	s_waitcnt vmcnt(2)
	v_or_b32_sdwa v8, v12, v8 dst_sel:WORD_1 dst_unused:UNUSED_PAD src0_sel:BYTE_0 src1_sel:DWORD
	s_nop 0
	v_or_b32_sdwa v70, v7, v8 dst_sel:DWORD dst_unused:UNUSED_PAD src0_sel:WORD_0 src1_sel:DWORD
	s_waitcnt vmcnt(1)
	v_lshlrev_b16_e32 v2, 8, v2
	v_or_b32_sdwa v2, v11, v2 dst_sel:WORD_1 dst_unused:UNUSED_PAD src0_sel:BYTE_0 src1_sel:DWORD
	scratch_load_dword v7, off, off offset:96 ; 4-byte Folded Reload
	v_or_b32_sdwa v66, v10, v2 dst_sel:DWORD dst_unused:UNUSED_PAD src0_sel:WORD_0 src1_sel:DWORD
	v_add_u32_e32 v10, v1, v0
	scratch_load_dword v0, off, off offset:32 ; 4-byte Folded Reload
	v_mfma_f32_16x16x32_fp8_fp8 a[172:175], v[66:67], v[124:125], a[172:175]
	scratch_load_dword v8, off, off offset:684 ; 4-byte Folded Reload
	scratch_load_dword v12, off, off offset:36 ; 4-byte Folded Reload
	;; [unrolled: 1-line block ×3, first 2 shown]
	v_mfma_f32_16x16x32_fp8_fp8 a[56:59], v[4:5], v[92:93], a[40:43]
	s_waitcnt vmcnt(5)
	v_lshlrev_b16_e32 v3, 8, v3
	v_or_b32_sdwa v11, v69, v3 dst_sel:DWORD dst_unused:UNUSED_PAD src0_sel:BYTE_0 src1_sel:DWORD
	scratch_load_dword v3, off, off offset:8 ; 4-byte Folded Reload
	v_mfma_f32_16x16x32_fp8_fp8 a[40:43], v[4:5], v[94:95], a[224:227]
	v_or_b32_sdwa v2, v62, v13 dst_sel:DWORD dst_unused:UNUSED_PAD src0_sel:BYTE_0 src1_sel:DWORD
	s_waitcnt vmcnt(5)
	v_lshlrev_b16_e32 v7, 8, v7
	v_mfma_f32_16x16x32_fp8_fp8 a[68:71], v[4:5], v[182:183], a[48:51]
	s_waitcnt vmcnt(3)
	v_lshlrev_b16_e32 v8, 8, v8
	v_mfma_f32_16x16x32_fp8_fp8 a[48:51], v[4:5], v[104:105], a[228:231]
	s_waitcnt vmcnt(2)
	v_lshlrev_b16_e32 v12, 8, v12
	s_waitcnt vmcnt(1)
	v_or_b32_sdwa v1, v1, v12 dst_sel:WORD_1 dst_unused:UNUSED_PAD src0_sel:BYTE_0 src1_sel:DWORD
	v_mfma_f32_16x16x32_fp8_fp8 a[64:67], v[4:5], v[74:75], a[44:47]
	v_mfma_f32_16x16x32_fp8_fp8 a[44:47], v[4:5], v[96:97], a[236:239]
	scratch_load_dword v4, off, off offset:116 ; 4-byte Folded Reload
	scratch_load_dword v5, off, off offset:772 ; 4-byte Folded Reload
	s_waitcnt vmcnt(1)
	v_lshlrev_b16_e32 v4, 8, v4
	v_or_b32_sdwa v17, v0, v4 dst_sel:WORD_1 dst_unused:UNUSED_PAD src0_sel:BYTE_0 src1_sel:DWORD
	scratch_load_dword v0, off, off offset:28 ; 4-byte Folded Reload
	s_waitcnt vmcnt(1)
	v_lshlrev_b16_e32 v5, 8, v5
	v_or_b32_sdwa v18, v68, v5 dst_sel:DWORD dst_unused:UNUSED_PAD src0_sel:BYTE_0 src1_sel:DWORD
	scratch_load_dword v4, off, off offset:4 ; 4-byte Folded Reload
	v_or_b32_sdwa v5, v64, v6 dst_sel:DWORD dst_unused:UNUSED_PAD src0_sel:BYTE_0 src1_sel:DWORD
	scratch_load_dword v6, off, off         ; 4-byte Folded Reload
	s_waitcnt lgkmcnt(0)
	s_barrier
	v_mfma_f32_16x16x32_fp8_fp8 a[192:195], v[66:67], v[114:115], a[192:195]
	s_waitcnt vmcnt(2)
	v_or_b32_sdwa v19, v0, v7 dst_sel:WORD_1 dst_unused:UNUSED_PAD src0_sel:BYTE_0 src1_sel:DWORD
	v_or_b32_sdwa v0, v63, v8 dst_sel:DWORD dst_unused:UNUSED_PAD src0_sel:BYTE_0 src1_sel:DWORD
	v_or_b32_sdwa v191, v0, v1 dst_sel:DWORD dst_unused:UNUSED_PAD src0_sel:WORD_0 src1_sel:DWORD
	scratch_load_dword v0, off, off offset:1088 ; 4-byte Folded Reload
	v_or_b32_sdwa v63, v11, v17 dst_sel:DWORD dst_unused:UNUSED_PAD src0_sel:WORD_0 src1_sel:DWORD
	v_or_b32_sdwa v62, v18, v19 dst_sel:DWORD dst_unused:UNUSED_PAD src0_sel:WORD_0 src1_sel:DWORD
	v_add3_u32 v8, v10, v120, v21
	v_or_b32_sdwa v7, v3, v14 dst_sel:WORD_1 dst_unused:UNUSED_PAD src0_sel:BYTE_0 src1_sel:DWORD
	v_mfma_f32_16x16x32_fp8_fp8 a[172:175], v[62:63], v[130:131], a[172:175]
	v_or_b32_sdwa v190, v2, v7 dst_sel:DWORD dst_unused:UNUSED_PAD src0_sel:WORD_0 src1_sel:DWORD
	v_or_b32_sdwa v3, v65, v15 dst_sel:DWORD dst_unused:UNUSED_PAD src0_sel:BYTE_0 src1_sel:DWORD
	s_waitcnt vmcnt(2)
	v_or_b32_sdwa v4, v4, v16 dst_sel:WORD_1 dst_unused:UNUSED_PAD src0_sel:BYTE_0 src1_sel:DWORD
	v_mfma_f32_16x16x32_fp8_fp8 a[76:79], v[72:73], v[116:117], a[76:79]
	s_waitcnt vmcnt(1)
	v_or_b32_sdwa v6, v6, v9 dst_sel:WORD_1 dst_unused:UNUSED_PAD src0_sel:BYTE_0 src1_sel:DWORD
	v_or_b32_sdwa v189, v3, v4 dst_sel:DWORD dst_unused:UNUSED_PAD src0_sel:WORD_0 src1_sel:DWORD
	v_or_b32_sdwa v188, v5, v6 dst_sel:DWORD dst_unused:UNUSED_PAD src0_sel:WORD_0 src1_sel:DWORD
	v_mfma_f32_16x16x32_fp8_fp8 a[224:227], v[72:73], v[98:99], a[120:123]
	v_mfma_f32_16x16x32_fp8_fp8 a[120:123], v[70:71], v[104:105], a[76:79]
	;; [unrolled: 1-line block ×21, first 2 shown]
	; sched_group_barrier mask(0x00000008) size(11) SyncID(0)
	; sched_group_barrier mask(0x00000200) size(1) SyncID(0)
	;; [unrolled: 1-line block ×4, first 2 shown]
	v_mfma_f32_16x16x32_fp8_fp8 a[108:111], v[72:73], v[114:115], a[108:111]
	v_mfma_f32_16x16x32_fp8_fp8 a[108:111], v[70:71], v[122:123], a[108:111]
	;; [unrolled: 1-line block ×8, first 2 shown]
	; sched_group_barrier mask(0x00000008) size(11) SyncID(0)
	; sched_group_barrier mask(0x00000200) size(1) SyncID(0)
	; sched_group_barrier mask(0x00000008) size(1) SyncID(0)
	; sched_group_barrier mask(0x00000020) size(1) SyncID(0)
	; sched_group_barrier mask(0x00000008) size(11) SyncID(0)
	; sched_group_barrier mask(0x00000200) size(1) SyncID(0)
	; sched_group_barrier mask(0x00000008) size(1) SyncID(0)
	; sched_group_barrier mask(0x00000020) size(1) SyncID(0)
	; sched_group_barrier mask(0x00000008) size(11) SyncID(0)
	; sched_group_barrier mask(0x00000200) size(1) SyncID(0)
	; sched_group_barrier mask(0x00000008) size(1) SyncID(0)
	; sched_group_barrier mask(0x00000020) size(1) SyncID(0)
	v_mfma_f32_16x16x32_fp8_fp8 a[244:247], v[102:103], v[100:101], a[12:15]
	v_mfma_f32_16x16x32_fp8_fp8 a[12:15], v[186:187], v[104:105], a[240:243]
	;; [unrolled: 1-line block ×5, first 2 shown]
	s_waitcnt vmcnt(0)
	ds_read_b128 v[146:149], v0
	scratch_load_dword v0, off, off offset:1092 ; 4-byte Folded Reload
	; sched_group_barrier mask(0x00000008) size(11) SyncID(0)
	; sched_group_barrier mask(0x00000200) size(1) SyncID(0)
	;; [unrolled: 1-line block ×57, first 2 shown]
	s_waitcnt lgkmcnt(0)
	v_lshrrev_b32_e32 v1, 16, v146
	v_mfma_f32_16x16x32_fp8_fp8 a[164:167], v[190:191], v[106:107], a[164:167]
	scratch_store_dword off, v1, off offset:804 ; 4-byte Folded Spill
	v_lshrrev_b32_e32 v1, 24, v146
	scratch_store_dword off, v1, off offset:808 ; 4-byte Folded Spill
	v_mfma_f32_16x16x32_fp8_fp8 a[164:167], v[188:189], v[74:75], a[164:167]
	v_lshrrev_b32_e32 v1, 16, v147
	scratch_store_dword off, v1, off offset:844 ; 4-byte Folded Spill
	v_lshrrev_b32_e32 v1, 24, v147
	v_mfma_f32_16x16x32_fp8_fp8 a[180:183], v[66:67], v[116:117], a[180:183]
	scratch_store_dword off, v1, off offset:848 ; 4-byte Folded Spill
	v_lshrrev_b32_e32 v1, 16, v148
	scratch_store_dword off, v1, off offset:796 ; 4-byte Folded Spill
	v_mfma_f32_16x16x32_fp8_fp8 a[184:187], v[66:67], v[100:101], a[184:187]
	v_lshrrev_b32_e32 v1, 24, v148
	scratch_store_dword off, v1, off offset:800 ; 4-byte Folded Spill
	v_lshrrev_b32_e32 v1, 16, v149
	v_mfma_f32_16x16x32_fp8_fp8 a[188:191], v[66:67], v[98:99], a[188:191]
	scratch_store_dword off, v1, off offset:812 ; 4-byte Folded Spill
	v_lshrrev_b32_e32 v1, 24, v149
	scratch_store_dword off, v1, off offset:816 ; 4-byte Folded Spill
	v_mfma_f32_16x16x32_fp8_fp8 a[176:179], v[66:67], v[90:91], a[176:179]
	v_lshrrev_b32_e32 v48, 8, v146
	v_lshrrev_b32_e32 v49, 8, v147
	;; [unrolled: 1-line block ×3, first 2 shown]
	v_mfma_f32_16x16x32_fp8_fp8 a[192:195], v[62:63], v[122:123], a[192:195]
	v_lshrrev_b32_e32 v37, 8, v149
	s_waitcnt vmcnt(8)
	ds_read_b128 v[138:141], v0 offset:4096
	v_add3_u32 v0, v8, v20, v22
	v_add3_u32 v0, v0, v23, v24
	scratch_store_dword off, v0, off offset:576 ; 4-byte Folded Spill
	scratch_load_dword v0, off, off offset:1096 ; 4-byte Folded Reload
	v_mfma_f32_16x16x32_fp8_fp8 a[180:183], v[62:63], v[104:105], a[180:183]
	s_waitcnt lgkmcnt(0)
	v_lshrrev_b32_e32 v1, 8, v138
	scratch_store_dword off, v1, off offset:864 ; 4-byte Folded Spill
	v_lshrrev_b32_e32 v1, 16, v138
	v_mfma_f32_16x16x32_fp8_fp8 a[184:187], v[62:63], v[96:97], a[184:187]
	scratch_store_dword off, v1, off offset:736 ; 4-byte Folded Spill
	v_lshrrev_b32_e32 v1, 24, v138
	scratch_store_dword off, v1, off offset:748 ; 4-byte Folded Spill
	v_mfma_f32_16x16x32_fp8_fp8 a[188:191], v[62:63], v[92:93], a[188:191]
	v_lshrrev_b32_e32 v1, 8, v139
	scratch_store_dword off, v1, off offset:872 ; 4-byte Folded Spill
	v_lshrrev_b32_e32 v1, 16, v139
	v_mfma_f32_16x16x32_fp8_fp8 a[176:179], v[62:63], v[94:95], a[176:179]
	scratch_store_dword off, v1, off offset:752 ; 4-byte Folded Spill
	v_lshrrev_b32_e32 v1, 24, v139
	scratch_store_dword off, v1, off offset:756 ; 4-byte Folded Spill
	v_mfma_f32_16x16x32_fp8_fp8 a[200:203], v[190:191], v[114:115], a[200:203]
	;; [unrolled: 8-line block ×4, first 2 shown]
	s_waitcnt vmcnt(12)
	ds_read_b128 v[86:89], v0 offset:24576
	ds_read_b128 v[110:113], v0 offset:20480
	;; [unrolled: 1-line block ×5, first 2 shown]
	scratch_load_dword v0, off, off offset:1128 ; 4-byte Folded Reload
	v_mfma_f32_16x16x32_fp8_fp8 a[212:215], v[190:191], v[100:101], a[212:215]
	s_waitcnt lgkmcnt(0)
	v_lshrrev_b32_e32 v1, 8, v134
	scratch_store_dword off, v1, off offset:880 ; 4-byte Folded Spill
	v_lshrrev_b32_e32 v1, 16, v134
	scratch_store_dword off, v1, off offset:760 ; 4-byte Folded Spill
	;; [unrolled: 2-line block ×38, first 2 shown]
	s_waitcnt vmcnt(38)
	ds_read_b128 v[178:181], v0
	v_lshrrev_b32_e32 v0, 8, v118
	scratch_store_dword off, v0, off offset:908 ; 4-byte Folded Spill
	v_lshrrev_b32_e32 v0, 16, v118
	scratch_store_dword off, v0, off offset:612 ; 4-byte Folded Spill
	;; [unrolled: 2-line block ×6, first 2 shown]
	scratch_load_dword v0, off, off offset:1100 ; 4-byte Folded Reload
	v_lshrrev_b32_e32 v1, 16, v87
	scratch_store_dword off, v1, off offset:264 ; 4-byte Folded Spill
	v_lshrrev_b32_e32 v1, 24, v87
	scratch_store_dword off, v1, off offset:272 ; 4-byte Folded Spill
	;; [unrolled: 2-line block ×4, first 2 shown]
	s_waitcnt lgkmcnt(0)
	v_lshrrev_b32_e32 v1, 24, v178
	scratch_store_dword off, v1, off offset:968 ; 4-byte Folded Spill
	v_lshrrev_b32_e32 v1, 16, v179
	scratch_store_dword off, v1, off offset:972 ; 4-byte Folded Spill
	v_lshrrev_b32_e32 v1, 24, v179
	v_mfma_f32_16x16x32_fp8_fp8 a[216:219], v[188:189], v[92:93], a[216:219]
	scratch_store_dword off, v1, off offset:980 ; 4-byte Folded Spill
	v_lshrrev_b32_e32 v1, 16, v180
	scratch_store_dword off, v1, off offset:976 ; 4-byte Folded Spill
	v_mfma_f32_16x16x32_fp8_fp8 a[220:223], v[190:191], v[90:91], a[220:223]
	v_lshrrev_b32_e32 v1, 24, v180
	scratch_store_dword off, v1, off offset:984 ; 4-byte Folded Spill
	v_lshrrev_b32_e32 v1, 16, v181
	scratch_store_dword off, v1, off offset:992 ; 4-byte Folded Spill
	v_lshrrev_b32_e32 v1, 24, v181
	v_mfma_f32_16x16x32_fp8_fp8 a[160:163], v[190:191], v[184:185], a[160:163]
	scratch_store_dword off, v1, off offset:996 ; 4-byte Folded Spill
	v_lshrrev_b32_e32 v206, 8, v179
	v_lshrrev_b32_e32 v207, 8, v180
	v_mfma_f32_16x16x32_fp8_fp8 a[212:215], v[188:189], v[96:97], a[212:215]
	v_lshrrev_b32_e32 v210, 8, v181
	s_waitcnt vmcnt(11)
	ds_read_b128 v[174:177], v0 offset:4096
	v_lshrrev_b32_e32 v0, 8, v120
	scratch_store_dword off, v0, off offset:916 ; 4-byte Folded Spill
	v_lshrrev_b32_e32 v0, 16, v120
	scratch_store_dword off, v0, off offset:604 ; 4-byte Folded Spill
	scratch_load_dword v0, off, off offset:1104 ; 4-byte Folded Reload
	v_mfma_f32_16x16x32_fp8_fp8 a[220:223], v[188:189], v[94:95], a[220:223]
	s_waitcnt lgkmcnt(0)
	v_lshrrev_b32_e32 v1, 16, v176
	scratch_store_dword off, v1, off offset:1012 ; 4-byte Folded Spill
	v_lshrrev_b32_e32 v1, 24, v176
	v_mfma_f32_16x16x32_fp8_fp8 a[196:199], v[188:189], v[130:131], a[196:199]
	scratch_store_dword off, v1, off offset:1016 ; 4-byte Folded Spill
	v_lshrrev_b32_e32 v1, 16, v177
	v_accvgpr_write_b32 a254, v1
	v_mfma_f32_16x16x32_fp8_fp8 a[208:211], v[188:189], v[104:105], a[208:211]
	v_lshrrev_b32_e32 v1, 24, v177
	v_accvgpr_write_b32 a253, v1
	v_lshrrev_b32_e32 v35, 8, v174
	v_mfma_f32_16x16x32_fp8_fp8 a[160:163], v[188:189], v[182:183], a[160:163]
	v_lshrrev_b32_e32 v205, 8, v175
	v_lshrrev_b32_e32 v20, 8, v176
	;; [unrolled: 1-line block ×3, first 2 shown]
	s_waitcnt vmcnt(2)
	ds_read_b128 v[150:153], v0 offset:28672
	ds_read_b128 v[154:157], v0 offset:24576
	;; [unrolled: 1-line block ×6, first 2 shown]
	v_lshrrev_b32_e32 v0, 8, v112
	scratch_store_dword off, v0, off offset:940 ; 4-byte Folded Spill
	v_lshrrev_b32_e32 v0, 16, v112
	scratch_store_dword off, v0, off offset:584 ; 4-byte Folded Spill
	scratch_load_dword v0, off, off offset:1108 ; 4-byte Folded Reload
	s_waitcnt lgkmcnt(0)
	v_lshrrev_b32_e32 v2, 16, v172
	v_accvgpr_write_b32 a252, v2
	v_lshrrev_b32_e32 v2, 24, v172
	v_accvgpr_write_b32 a239, v2
	;; [unrolled: 2-line block ×10, first 2 shown]
	v_lshrrev_b32_e32 v3, 24, v157
	v_lshrrev_b32_e32 v1, 16, v170
	v_accvgpr_write_b32 a224, v3
	v_lshrrev_b32_e32 v3, 16, v157
	v_lshrrev_b32_e32 v4, 16, v155
	v_accvgpr_write_b32 a255, v1
	v_lshrrev_b32_e32 v1, 24, v170
	v_accvgpr_write_b32 a247, v3
	;; [unrolled: 2-line block ×6, first 2 shown]
	v_lshrrev_b32_e32 v4, 16, v154
	v_lshrrev_b32_e32 v17, 8, v170
	;; [unrolled: 1-line block ×3, first 2 shown]
	v_accvgpr_write_b32 a249, v1
	v_lshrrev_b32_e32 v1, 24, v171
	v_lshrrev_b32_e32 v13, 8, v172
	;; [unrolled: 1-line block ×10, first 2 shown]
	v_accvgpr_write_b32 a227, v3
	v_lshrrev_b32_e32 v3, 8, v156
	v_lshrrev_b32_e32 v43, 24, v155
	;; [unrolled: 1-line block ×3, first 2 shown]
	v_accvgpr_write_b32 a248, v4
	v_lshrrev_b32_e32 v4, 8, v154
	v_lshrrev_b32_e32 v54, 24, v161
	;; [unrolled: 1-line block ×24, first 2 shown]
	s_waitcnt vmcnt(0)
	ds_read_b128 v[106:109], v0
	v_lshrrev_b32_e32 v0, 24, v112
	scratch_store_dword off, v0, off offset:592 ; 4-byte Folded Spill
	v_lshrrev_b32_e32 v0, 8, v113
	scratch_store_dword off, v0, off offset:944 ; 4-byte Folded Spill
	scratch_load_dword v0, off, off offset:1112 ; 4-byte Folded Reload
	v_lshrrev_b32_e32 v18, 8, v162
	v_lshrrev_b32_e32 v59, 24, v169
	;; [unrolled: 1-line block ×6, first 2 shown]
	s_waitcnt vmcnt(0)
	ds_read_b128 v[74:77], v0 offset:4096
	v_lshrrev_b32_e32 v0, 16, v113
	scratch_store_dword off, v0, off offset:292 ; 4-byte Folded Spill
	v_lshrrev_b32_e32 v0, 24, v113
	scratch_store_dword off, v0, off offset:296 ; 4-byte Folded Spill
	scratch_load_dword v0, off, off offset:1116 ; 4-byte Folded Reload
	s_waitcnt vmcnt(0)
	ds_read_b128 v[66:69], v0 offset:16384
	ds_read_b128 v[78:81], v0 offset:12288
	;; [unrolled: 1-line block ×5, first 2 shown]
	v_lshrrev_b32_e32 v0, 24, v88
	scratch_store_dword off, v0, off offset:196 ; 4-byte Folded Spill
	v_lshrrev_b32_e32 v0, 8, v89
	scratch_store_dword off, v0, off offset:856 ; 4-byte Folded Spill
	scratch_load_dword v0, off, off offset:1120 ; 4-byte Folded Reload
	s_waitcnt lgkmcnt(3)
	v_lshrrev_b32_e32 v24, 16, v80
	scratch_store_dword off, v24, off offset:120 ; 4-byte Folded Spill
	v_lshrrev_b32_e32 v24, 24, v80
	scratch_store_dword off, v24, off offset:128 ; 4-byte Folded Spill
	v_lshrrev_b32_e32 v24, 8, v81
	v_lshrrev_b32_e32 v2, 8, v80
	scratch_store_dword off, v24, off offset:824 ; 4-byte Folded Spill
	v_lshrrev_b32_e32 v24, 16, v81
	scratch_store_dword off, v2, off offset:696 ; 4-byte Folded Spill
	;; [unrolled: 2-line block ×14, first 2 shown]
	s_waitcnt lgkmcnt(2)
	v_lshrrev_b32_e32 v2, 24, v85
	scratch_store_dword off, v24, off offset:44 ; 4-byte Folded Spill
	v_lshrrev_b32_e32 v24, 24, v67
	scratch_store_dword off, v2, off offset:80 ; 4-byte Folded Spill
	;; [unrolled: 2-line block ×15, first 2 shown]
	s_waitcnt lgkmcnt(1)
	v_lshrrev_b32_e32 v24, 8, v62
	scratch_store_dword off, v2, off offset:92 ; 4-byte Folded Spill
	v_lshrrev_b32_e32 v2, 8, v83
	scratch_store_dword off, v24, off offset:680 ; 4-byte Folded Spill
	;; [unrolled: 2-line block ×8, first 2 shown]
	s_waitcnt vmcnt(39)
	ds_read_b128 v[122:125], v0 offset:28672
	v_lshrrev_b32_e32 v0, 16, v89
	scratch_store_dword off, v0, off offset:200 ; 4-byte Folded Spill
	v_lshrrev_b32_e32 v0, 24, v89
	scratch_store_dword off, v0, off offset:204 ; 4-byte Folded Spill
	scratch_load_dword v0, off, off offset:1124 ; 4-byte Folded Reload
	v_lshrrev_b32_e32 v24, 16, v63
	scratch_store_dword off, v2, off offset:740 ; 4-byte Folded Spill
	v_lshrrev_b32_e32 v2, 24, v77
	scratch_store_dword off, v24, off offset:16 ; 4-byte Folded Spill
	;; [unrolled: 2-line block ×7, first 2 shown]
	v_lshrrev_b32_e32 v2, 24, v76
	scratch_store_dword off, v24, off       ; 4-byte Folded Spill
	v_lshrrev_b32_e32 v24, 24, v64
	scratch_store_dword off, v2, off offset:180 ; 4-byte Folded Spill
	v_lshrrev_b32_e32 v2, 16, v76
	scratch_store_dword off, v24, off offset:12 ; 4-byte Folded Spill
	;; [unrolled: 2-line block ×8, first 2 shown]
	s_waitcnt lgkmcnt(1)
	v_lshrrev_b32_e32 v24, 8, v70
	scratch_store_dword off, v2, off offset:164 ; 4-byte Folded Spill
	v_lshrrev_b32_e32 v2, 8, v75
	scratch_store_dword off, v24, off offset:988 ; 4-byte Folded Spill
	;; [unrolled: 2-line block ×14, first 2 shown]
	v_lshrrev_b32_e32 v24, 16, v72
	v_accvgpr_write_b32 a240, v2
	v_lshrrev_b32_e32 v2, 24, v108
	scratch_store_dword off, v24, off offset:76 ; 4-byte Folded Spill
	v_lshrrev_b32_e32 v24, 24, v72
	scratch_store_dword off, v2, off offset:216 ; 4-byte Folded Spill
	;; [unrolled: 2-line block ×5, first 2 shown]
	v_lshrrev_b32_e32 v24, 16, v73
	v_accvgpr_write_b32 a238, v2
	v_lshrrev_b32_e32 v2, 24, v107
	scratch_store_dword off, v24, off offset:100 ; 4-byte Folded Spill
	v_lshrrev_b32_e32 v24, 24, v73
	scratch_store_dword off, v2, off offset:228 ; 4-byte Folded Spill
	v_lshrrev_b32_e32 v2, 16, v107
	s_waitcnt vmcnt(37)
	ds_read_b128 v[114:117], v0 offset:4096
	v_lshrrev_b32_e32 v0, 8, v178
	scratch_store_dword off, v0, off offset:1008 ; 4-byte Folded Spill
	v_lshrrev_b32_e32 v0, 16, v178
	scratch_store_dword off, v0, off offset:948 ; 4-byte Folded Spill
	scratch_load_dword v0, off, off offset:1132 ; 4-byte Folded Reload
	s_waitcnt lgkmcnt(1)
	v_lshrrev_b32_e32 v216, 8, v122
	scratch_store_dword off, v24, off offset:112 ; 4-byte Folded Spill
	v_lshrrev_b32_e32 v24, 16, v122
	scratch_store_dword off, v2, off offset:224 ; 4-byte Folded Spill
	;; [unrolled: 2-line block ×3, first 2 shown]
	v_lshrrev_b32_e32 v24, 24, v122
	v_accvgpr_write_b32 a244, v2
	v_lshrrev_b32_e32 v2, 24, v106
	scratch_store_dword off, v24, off offset:336 ; 4-byte Folded Spill
	v_lshrrev_b32_e32 v24, 16, v123
	scratch_store_dword off, v2, off offset:220 ; 4-byte Folded Spill
	;; [unrolled: 2-line block ×5, first 2 shown]
	v_lshrrev_b32_e32 v24, 24, v124
	v_accvgpr_write_b32 a250, v2
	v_lshrrev_b32_e32 v2, 24, v153
	scratch_store_dword off, v24, off offset:308 ; 4-byte Folded Spill
	v_lshrrev_b32_e32 v24, 16, v125
	v_accvgpr_write_b32 a225, v2
	v_lshrrev_b32_e32 v2, 16, v153
	scratch_store_dword off, v24, off offset:320 ; 4-byte Folded Spill
	s_waitcnt lgkmcnt(0)
	v_lshrrev_b32_e32 v24, 16, v114
	v_accvgpr_write_b32 a243, v2
	v_lshrrev_b32_e32 v2, 24, v152
	scratch_store_dword off, v24, off offset:312 ; 4-byte Folded Spill
	v_lshrrev_b32_e32 v24, 24, v114
	v_accvgpr_write_b32 a234, v2
	v_lshrrev_b32_e32 v2, 16, v152
	scratch_store_dword off, v24, off offset:316 ; 4-byte Folded Spill
	;; [unrolled: 4-line block ×4, first 2 shown]
	v_lshrrev_b32_e32 v24, 16, v116
	v_accvgpr_write_b32 a236, v2
	v_lshrrev_b32_e32 v2, 8, v151
	v_lshrrev_b32_e32 v209, 8, v123
	v_lshrrev_b32_e32 v28, 24, v123
	v_lshrrev_b32_e32 v31, 8, v124
	v_lshrrev_b32_e32 v32, 8, v125
	v_lshrrev_b32_e32 v30, 24, v125
	v_lshrrev_b32_e32 v230, 8, v114
	v_lshrrev_b32_e32 v234, 8, v115
	v_lshrrev_b32_e32 v229, 8, v116
	scratch_store_dword off, v24, off offset:304 ; 4-byte Folded Spill
	v_lshrrev_b32_e32 v27, 24, v116
	v_lshrrev_b32_e32 v233, 8, v117
	;; [unrolled: 1-line block ×4, first 2 shown]
	; sched_group_barrier mask(0x00000100) size(1) SyncID(0)
	; sched_group_barrier mask(0x00000008) size(1) SyncID(0)
	;; [unrolled: 1-line block ×40, first 2 shown]
	s_waitcnt vmcnt(15)
	ds_read_b128 v[98:101], v0 offset:16384
	ds_read_b128 v[90:93], v0 offset:20480
	;; [unrolled: 1-line block ×5, first 2 shown]
	s_waitcnt lgkmcnt(4)
	v_lshrrev_b32_e32 v44, 16, v100
	scratch_store_dword off, v44, off offset:288 ; 4-byte Folded Spill
	s_waitcnt lgkmcnt(3)
	v_lshrrev_b32_e32 v44, 16, v90
	ds_read_b128 v[102:105], v0 offset:28672
	scratch_store_dword off, v44, off offset:280 ; 4-byte Folded Spill
	v_lshrrev_b32_e32 v44, 16, v91
	scratch_store_dword off, v44, off offset:284 ; 4-byte Folded Spill
	v_lshrrev_b32_e32 v44, 16, v92
	v_lshrrev_b32_e32 v0, 16, v174
	scratch_store_dword off, v44, off offset:248 ; 4-byte Folded Spill
	v_lshrrev_b32_e32 v44, 16, v93
	scratch_store_dword off, v0, off offset:344 ; 4-byte Folded Spill
	;; [unrolled: 2-line block ×3, first 2 shown]
	s_waitcnt lgkmcnt(3)
	v_lshrrev_b32_e32 v44, 16, v94
	scratch_store_dword off, v0, off offset:1000 ; 4-byte Folded Spill
	v_lshrrev_b32_e32 v0, 16, v175
	scratch_store_dword off, v44, off offset:268 ; 4-byte Folded Spill
	v_lshrrev_b32_e32 v44, 16, v95
	v_lshrrev_b32_e32 v45, 16, v96
	;; [unrolled: 1-line block ×3, first 2 shown]
	scratch_store_dword off, v0, off offset:1020 ; 4-byte Folded Spill
	v_lshrrev_b32_e32 v0, 24, v175
	s_waitcnt lgkmcnt(2)
	v_lshrrev_b32_e32 v211, 8, v142
	v_lshrrev_b32_e32 v196, 16, v142
	;; [unrolled: 1-line block ×12, first 2 shown]
	s_waitcnt lgkmcnt(1)
	v_lshrrev_b32_e32 v231, 8, v130
	v_lshrrev_b32_e32 v193, 16, v130
	;; [unrolled: 1-line block ×34, first 2 shown]
	scratch_store_dword off, v44, off offset:276 ; 4-byte Folded Spill
	v_lshrrev_b32_e32 v241, 24, v95
	v_lshrrev_b32_e32 v44, 8, v96
	scratch_store_dword off, v45, off offset:240 ; 4-byte Folded Spill
	v_lshrrev_b32_e32 v45, 24, v96
	v_lshrrev_b32_e32 v238, 8, v97
	scratch_store_dword off, v46, off offset:244 ; 4-byte Folded Spill
	v_lshrrev_b32_e32 v239, 24, v97
	s_waitcnt lgkmcnt(0)
	v_lshrrev_b32_e32 v222, 8, v102
	v_lshrrev_b32_e32 v246, 16, v102
	;; [unrolled: 1-line block ×12, first 2 shown]
	; sched_barrier mask(0x00000000)
	s_add_i32 s16, s16, -1
	v_add_u32_e32 v55, 0x80, v55
	s_cmp_lg_u32 s16, 0
	v_add_u32_e32 v56, 0x80, v56
	s_cbranch_scc1 .LBB2_11
; %bb.12:
	scratch_store_dword off, v226, off offset:1040 ; 4-byte Folded Spill
	scratch_store_dword off, v59, off offset:1044 ; 4-byte Folded Spill
	;; [unrolled: 1-line block ×64, first 2 shown]
	v_lshrrev_b32_e32 v29, 24, v149
	v_accvgpr_write_b32 a229, v29
	v_lshrrev_b32_e32 v29, 16, v148
	v_accvgpr_write_b32 a230, v29
	;; [unrolled: 2-line block ×3, first 2 shown]
	v_lshrrev_b32_e32 v29, 16, v135
	v_lshrrev_b32_e32 v31, 16, v176
	v_accvgpr_write_b32 a237, v29
	v_lshrrev_b32_e32 v29, 24, v137
	v_accvgpr_read_b32 v228, a253
	v_accvgpr_write_b32 a246, v31
	v_lshrrev_b32_e32 v31, 24, v181
	v_lshrrev_b32_e32 v55, 24, v147
	v_accvgpr_write_b32 a253, v29
	v_lshrrev_b32_e32 v29, 16, v137
	v_accvgpr_read_b32 v249, a231
	v_accvgpr_write_b32 a231, v31
	v_lshrrev_b32_e32 v31, 24, v180
	v_lshrrev_b32_e32 v184, 16, v147
	v_accvgpr_write_b32 a226, v29
	v_lshrrev_b32_e32 v29, 24, v136
	v_lshlrev_b16_e32 v49, 8, v49
	v_lshlrev_b16_e32 v55, 8, v55
	v_accvgpr_read_b32 v227, a254
	v_accvgpr_write_b32 a254, v31
	v_lshrrev_b32_e32 v31, 24, v179
	v_lshrrev_b32_e32 v43, 24, v146
	v_accvgpr_write_b32 a225, v29
	v_lshrrev_b32_e32 v29, 16, v136
	v_lshrrev_b32_e32 v47, 16, v126
	v_or_b32_sdwa v49, v147, v49 dst_sel:DWORD dst_unused:UNUSED_PAD src0_sel:BYTE_0 src1_sel:DWORD
	v_or_b32_sdwa v55, v184, v55 dst_sel:WORD_1 dst_unused:UNUSED_PAD src0_sel:BYTE_0 src1_sel:DWORD
	v_accvgpr_read_b32 v60, a252
	v_accvgpr_write_b32 a252, v31
	v_lshrrev_b32_e32 v246, 16, v146
	v_accvgpr_write_b32 a224, v29
	v_lshrrev_b32_e32 v29, 24, v129
	;; [unrolled: 2-line block ×3, first 2 shown]
	v_or_b32_sdwa v237, v49, v55 dst_sel:DWORD dst_unused:UNUSED_PAD src0_sel:WORD_0 src1_sel:DWORD
	v_lshlrev_b16_e32 v48, 8, v48
	v_lshlrev_b16_e32 v49, 8, v43
	v_accvgpr_write_b32 a235, v47
	v_lshrrev_b32_e32 v47, 16, v121
	v_accvgpr_write_b32 a227, v29
	v_or_b32_sdwa v48, v146, v48 dst_sel:DWORD dst_unused:UNUSED_PAD src0_sel:BYTE_0 src1_sel:DWORD
	v_or_b32_sdwa v49, v246, v49 dst_sel:WORD_1 dst_unused:UNUSED_PAD src0_sel:BYTE_0 src1_sel:DWORD
	v_accvgpr_read_b32 v29, a252
	v_lshrrev_b32_e32 v44, 16, v179
	v_lshrrev_b32_e32 v31, 16, v178
	v_accvgpr_write_b32 a232, v47
	v_lshrrev_b32_e32 v47, 24, v120
	v_or_b32_sdwa v236, v48, v49 dst_sel:DWORD dst_unused:UNUSED_PAD src0_sel:WORD_0 src1_sel:DWORD
	v_lshlrev_b16_e32 v48, 8, v206
	v_lshlrev_b16_e32 v49, 8, v29
	v_accvgpr_read_b32 v244, a249
	v_lshrrev_b32_e32 v247, 8, v178
	v_lshrrev_b32_e32 v221, 24, v178
	v_accvgpr_write_b32 a249, v31
	v_accvgpr_write_b32 a239, v47
	v_lshrrev_b32_e32 v47, 16, v120
	v_or_b32_sdwa v48, v179, v48 dst_sel:DWORD dst_unused:UNUSED_PAD src0_sel:BYTE_0 src1_sel:DWORD
	v_or_b32_sdwa v49, v44, v49 dst_sel:WORD_1 dst_unused:UNUSED_PAD src0_sel:BYTE_0 src1_sel:DWORD
	v_accvgpr_write_b32 a238, v47
	v_lshrrev_b32_e32 v47, 24, v111
	v_or_b32_sdwa v147, v48, v49 dst_sel:DWORD dst_unused:UNUSED_PAD src0_sel:WORD_0 src1_sel:DWORD
	v_lshlrev_b16_e32 v48, 8, v247
	v_lshlrev_b16_e32 v49, 8, v221
	v_accvgpr_read_b32 v29, a249
	v_accvgpr_write_b32 a241, v47
	v_or_b32_sdwa v48, v178, v48 dst_sel:DWORD dst_unused:UNUSED_PAD src0_sel:BYTE_0 src1_sel:DWORD
	v_or_b32_sdwa v49, v29, v49 dst_sel:WORD_1 dst_unused:UNUSED_PAD src0_sel:BYTE_0 src1_sel:DWORD
	v_accvgpr_read_b32 v47, a229
	v_lshrrev_b32_e32 v56, 16, v149
	v_or_b32_sdwa v146, v48, v49 dst_sel:DWORD dst_unused:UNUSED_PAD src0_sel:WORD_0 src1_sel:DWORD
	v_lshlrev_b16_e32 v37, 8, v37
	v_lshlrev_b16_e32 v48, 8, v47
	v_lshrrev_b32_e32 v239, 24, v148
	v_accvgpr_read_b32 v208, a250
	v_accvgpr_write_b32 a251, v147
	v_or_b32_sdwa v37, v149, v37 dst_sel:DWORD dst_unused:UNUSED_PAD src0_sel:BYTE_0 src1_sel:DWORD
	v_or_b32_sdwa v48, v56, v48 dst_sel:WORD_1 dst_unused:UNUSED_PAD src0_sel:BYTE_0 src1_sel:DWORD
	v_accvgpr_write_b32 a250, v146
	v_or_b32_sdwa v147, v37, v48 dst_sel:DWORD dst_unused:UNUSED_PAD src0_sel:WORD_0 src1_sel:DWORD
	v_lshlrev_b16_e32 v36, 8, v36
	v_lshlrev_b16_e32 v37, 8, v239
	v_accvgpr_read_b32 v47, a230
	v_or_b32_sdwa v36, v148, v36 dst_sel:DWORD dst_unused:UNUSED_PAD src0_sel:BYTE_0 src1_sel:DWORD
	v_or_b32_sdwa v37, v47, v37 dst_sel:WORD_1 dst_unused:UNUSED_PAD src0_sel:BYTE_0 src1_sel:DWORD
	v_accvgpr_read_b32 v29, a231
	v_lshrrev_b32_e32 v218, 16, v181
	v_lshrrev_b32_e32 v31, 16, v180
	v_or_b32_sdwa v146, v36, v37 dst_sel:DWORD dst_unused:UNUSED_PAD src0_sel:WORD_0 src1_sel:DWORD
	v_lshlrev_b16_e32 v36, 8, v210
	v_lshlrev_b16_e32 v37, 8, v29
	v_accvgpr_write_b32 a228, v31
	v_or_b32_sdwa v36, v181, v36 dst_sel:DWORD dst_unused:UNUSED_PAD src0_sel:BYTE_0 src1_sel:DWORD
	v_or_b32_sdwa v37, v218, v37 dst_sel:WORD_1 dst_unused:UNUSED_PAD src0_sel:BYTE_0 src1_sel:DWORD
	v_accvgpr_read_b32 v29, a254
	v_or_b32_sdwa v181, v36, v37 dst_sel:DWORD dst_unused:UNUSED_PAD src0_sel:WORD_0 src1_sel:DWORD
	v_lshlrev_b16_e32 v36, 8, v207
	v_lshlrev_b16_e32 v37, 8, v29
	v_accvgpr_read_b32 v29, a228
	scratch_store_dword off, v212, off offset:412 ; 4-byte Folded Spill
	scratch_store_dword off, v28, off offset:396 ; 4-byte Folded Spill
	;; [unrolled: 1-line block ×5, first 2 shown]
	v_or_b32_sdwa v36, v180, v36 dst_sel:DWORD dst_unused:UNUSED_PAD src0_sel:BYTE_0 src1_sel:DWORD
	v_or_b32_sdwa v37, v29, v37 dst_sel:WORD_1 dst_unused:UNUSED_PAD src0_sel:BYTE_0 src1_sel:DWORD
	v_lshrrev_b32_e32 v240, 16, v175
	v_or_b32_sdwa v180, v36, v37 dst_sel:DWORD dst_unused:UNUSED_PAD src0_sel:WORD_0 src1_sel:DWORD
	v_lshlrev_b16_e32 v37, 8, v0
	scratch_load_dword v0, off, off offset:344 ; 4-byte Folded Reload
	v_lshlrev_b16_e32 v36, 8, v205
	v_accvgpr_write_b32 a240, v42
	v_lshrrev_b32_e32 v42, 24, v174
	v_or_b32_sdwa v36, v175, v36 dst_sel:DWORD dst_unused:UNUSED_PAD src0_sel:BYTE_0 src1_sel:DWORD
	v_or_b32_sdwa v37, v240, v37 dst_sel:WORD_1 dst_unused:UNUSED_PAD src0_sel:BYTE_0 src1_sel:DWORD
	v_lshlrev_b16_e32 v22, 8, v22
	v_or_b32_sdwa v179, v36, v37 dst_sel:DWORD dst_unused:UNUSED_PAD src0_sel:WORD_0 src1_sel:DWORD
	v_lshlrev_b16_e32 v36, 8, v35
	v_lshlrev_b16_e32 v37, 8, v42
	v_or_b32_sdwa v36, v174, v36 dst_sel:DWORD dst_unused:UNUSED_PAD src0_sel:BYTE_0 src1_sel:DWORD
	v_lshrrev_b32_e32 v242, 24, v176
	v_or_b32_sdwa v22, v177, v22 dst_sel:DWORD dst_unused:UNUSED_PAD src0_sel:BYTE_0 src1_sel:DWORD
	v_lshlrev_b16_e32 v20, 8, v20
	v_or_b32_sdwa v20, v176, v20 dst_sel:DWORD dst_unused:UNUSED_PAD src0_sel:BYTE_0 src1_sel:DWORD
	v_accvgpr_read_b32 v251, a255
	v_lshrrev_b32_e32 v238, 8, v139
	v_lshrrev_b32_e32 v27, 8, v120
	;; [unrolled: 1-line block ×3, first 2 shown]
	v_accvgpr_write_b32 a233, v27
	v_lshrrev_b32_e32 v31, 16, v139
	v_lshrrev_b32_e32 v27, 16, v138
	;; [unrolled: 1-line block ×4, first 2 shown]
	v_accvgpr_write_b32 a255, v27
	v_lshrrev_b32_e32 v28, 8, v141
	v_lshrrev_b32_e32 v222, 24, v141
	;; [unrolled: 1-line block ×4, first 2 shown]
	v_accvgpr_read_b32 v192, a244
	v_accvgpr_write_b32 a244, v219
	v_lshrrev_b32_e32 v253, 8, v140
	v_lshrrev_b32_e32 v190, 8, v135
	v_accvgpr_write_b32 a248, v190
	v_lshrrev_b32_e32 v51, 24, v135
	v_lshrrev_b32_e32 v26, 8, v134
	;; [unrolled: 1-line block ×6, first 2 shown]
	v_accvgpr_read_b32 v184, a226
	v_accvgpr_write_b32 a243, v189
	v_mfma_f32_16x16x32_fp8_fp8 a[156:159], v[236:237], a[250:251], a[156:159]
	v_lshrrev_b32_e32 v235, 8, v127
	v_lshrrev_b32_e32 v191, 8, v126
	;; [unrolled: 1-line block ×3, first 2 shown]
	v_mfma_f32_16x16x32_fp8_fp8 a[156:159], v[146:147], v[180:181], a[156:159]
	v_lshrrev_b32_e32 v226, 16, v127
	v_lshrrev_b32_e32 v188, 24, v128
	v_accvgpr_write_b32 a234, v191
	v_lshrrev_b32_e32 v53, 24, v126
	v_accvgpr_write_b32 a236, v188
	v_accvgpr_read_b32 v29, a234
	v_lshrrev_b32_e32 v212, 8, v129
	v_accvgpr_read_b32 v191, a159
	v_accvgpr_read_b32 v190, a158
	;; [unrolled: 1-line block ×5, first 2 shown]
	v_lshrrev_b32_e32 v224, 16, v129
	v_lshrrev_b32_e32 v245, 8, v128
	;; [unrolled: 1-line block ×15, first 2 shown]
	s_lshl_b64 s[0:1], s[10:11], 1
	s_add_u32 s28, s8, s0
	s_mul_i32 s15, s15, s25
	s_mul_hi_u32 s0, s14, s25
	s_addc_u32 s29, s9, s1
	s_add_i32 s0, s0, s15
	s_waitcnt vmcnt(0)
	v_or_b32_sdwa v37, v0, v37 dst_sel:WORD_1 dst_unused:UNUSED_PAD src0_sel:BYTE_0 src1_sel:DWORD
	v_accvgpr_read_b32 v0, a246
	v_or_b32_sdwa v178, v36, v37 dst_sel:DWORD dst_unused:UNUSED_PAD src0_sel:WORD_0 src1_sel:DWORD
	v_lshlrev_b16_e32 v36, 8, v228
	v_or_b32_sdwa v36, v227, v36 dst_sel:WORD_1 dst_unused:UNUSED_PAD src0_sel:BYTE_0 src1_sel:DWORD
	v_mfma_f32_16x16x32_fp8_fp8 a[152:155], v[236:237], v[178:179], a[152:155]
	v_or_b32_sdwa v177, v22, v36 dst_sel:DWORD dst_unused:UNUSED_PAD src0_sel:WORD_0 src1_sel:DWORD
	v_lshlrev_b16_e32 v22, 8, v242
	v_or_b32_sdwa v0, v0, v22 dst_sel:WORD_1 dst_unused:UNUSED_PAD src0_sel:BYTE_0 src1_sel:DWORD
	s_add_i32 s0, s21, s0
	v_or_b32_sdwa v176, v20, v0 dst_sel:DWORD dst_unused:UNUSED_PAD src0_sel:WORD_0 src1_sel:DWORD
	v_lshlrev_b16_e32 v0, 8, v19
	v_lshlrev_b16_e32 v19, 8, v1
	v_or_b32_sdwa v0, v171, v0 dst_sel:DWORD dst_unused:UNUSED_PAD src0_sel:BYTE_0 src1_sel:DWORD
	v_or_b32_sdwa v19, v244, v19 dst_sel:WORD_1 dst_unused:UNUSED_PAD src0_sel:BYTE_0 src1_sel:DWORD
	v_lshlrev_b16_e32 v1, 8, v249
	v_or_b32_sdwa v175, v0, v19 dst_sel:DWORD dst_unused:UNUSED_PAD src0_sel:WORD_0 src1_sel:DWORD
	v_lshlrev_b16_e32 v0, 8, v17
	v_or_b32_sdwa v0, v170, v0 dst_sel:DWORD dst_unused:UNUSED_PAD src0_sel:BYTE_0 src1_sel:DWORD
	v_or_b32_sdwa v1, v251, v1 dst_sel:WORD_1 dst_unused:UNUSED_PAD src0_sel:BYTE_0 src1_sel:DWORD
	v_mfma_f32_16x16x32_fp8_fp8 a[152:155], v[146:147], v[176:177], a[152:155]
	v_or_b32_sdwa v174, v0, v1 dst_sel:DWORD dst_unused:UNUSED_PAD src0_sel:WORD_0 src1_sel:DWORD
	scratch_load_dword v1, off, off offset:1004 ; 4-byte Folded Reload
	v_lshlrev_b16_e32 v0, 8, v16
	scratch_load_dword v16, off, off offset:964 ; 4-byte Folded Reload
	v_or_b32_sdwa v0, v173, v0 dst_sel:DWORD dst_unused:UNUSED_PAD src0_sel:BYTE_0 src1_sel:DWORD
	v_mfma_f32_16x16x32_fp8_fp8 a[148:151], v[236:237], v[174:175], a[148:151]
	s_lshl_b32 s30, s0, 1
	v_accvgpr_read_b32 v243, a155
	v_accvgpr_read_b32 v242, a154
	;; [unrolled: 1-line block ×4, first 2 shown]
	s_mov_b32 s31, 0x20000
	s_lshl_b32 s18, s25, 5
	s_waitcnt vmcnt(1)
	v_lshlrev_b16_e32 v1, 8, v1
	s_waitcnt vmcnt(0)
	v_or_b32_sdwa v1, v16, v1 dst_sel:WORD_1 dst_unused:UNUSED_PAD src0_sel:BYTE_0 src1_sel:DWORD
	s_nop 0
	v_or_b32_sdwa v173, v0, v1 dst_sel:DWORD dst_unused:UNUSED_PAD src0_sel:WORD_0 src1_sel:DWORD
	scratch_load_dword v1, off, off offset:960 ; 4-byte Folded Reload
	v_lshlrev_b16_e32 v0, 8, v13
	v_or_b32_sdwa v0, v172, v0 dst_sel:DWORD dst_unused:UNUSED_PAD src0_sel:BYTE_0 src1_sel:DWORD
	s_waitcnt vmcnt(0)
	v_lshlrev_b16_e32 v1, 8, v1
	v_or_b32_sdwa v1, v60, v1 dst_sel:WORD_1 dst_unused:UNUSED_PAD src0_sel:BYTE_0 src1_sel:DWORD
	s_nop 0
	v_or_b32_sdwa v172, v0, v1 dst_sel:DWORD dst_unused:UNUSED_PAD src0_sel:WORD_0 src1_sel:DWORD
	scratch_load_dword v1, off, off offset:944 ; 4-byte Folded Reload
	v_lshlrev_b16_e32 v0, 8, v12
	scratch_load_dword v12, off, off offset:956 ; 4-byte Folded Reload
	v_or_b32_sdwa v0, v167, v0 dst_sel:DWORD dst_unused:UNUSED_PAD src0_sel:BYTE_0 src1_sel:DWORD
	v_mfma_f32_16x16x32_fp8_fp8 a[148:151], v[146:147], v[172:173], a[148:151]
	s_waitcnt vmcnt(1)
	v_lshlrev_b16_e32 v1, 8, v1
	s_nop 4
	v_accvgpr_read_b32 v249, a151
	s_waitcnt vmcnt(0)
	v_or_b32_sdwa v1, v12, v1 dst_sel:WORD_1 dst_unused:UNUSED_PAD src0_sel:BYTE_0 src1_sel:DWORD
	v_accvgpr_read_b32 v248, a150
	v_or_b32_sdwa v171, v0, v1 dst_sel:DWORD dst_unused:UNUSED_PAD src0_sel:WORD_0 src1_sel:DWORD
	scratch_load_dword v1, off, off offset:952 ; 4-byte Folded Reload
	v_lshlrev_b16_e32 v0, 8, v10
	scratch_load_dword v10, off, off offset:940 ; 4-byte Folded Reload
	v_or_b32_sdwa v0, v166, v0 dst_sel:DWORD dst_unused:UNUSED_PAD src0_sel:BYTE_0 src1_sel:DWORD
	v_accvgpr_read_b32 v247, a149
	v_accvgpr_read_b32 v246, a148
	s_waitcnt vmcnt(1)
	v_lshlrev_b16_e32 v1, 8, v1
	s_waitcnt vmcnt(0)
	v_or_b32_sdwa v1, v10, v1 dst_sel:WORD_1 dst_unused:UNUSED_PAD src0_sel:BYTE_0 src1_sel:DWORD
	s_nop 0
	v_or_b32_sdwa v170, v0, v1 dst_sel:DWORD dst_unused:UNUSED_PAD src0_sel:WORD_0 src1_sel:DWORD
	scratch_load_dword v1, off, off offset:1044 ; 4-byte Folded Reload
	scratch_load_dword v10, off, off offset:1048 ; 4-byte Folded Reload
	v_lshlrev_b16_e32 v0, 8, v23
	v_or_b32_sdwa v0, v169, v0 dst_sel:DWORD dst_unused:UNUSED_PAD src0_sel:BYTE_0 src1_sel:DWORD
	v_mfma_f32_16x16x32_fp8_fp8 a[144:147], v[236:237], v[170:171], a[144:147]
	s_waitcnt vmcnt(1)
	v_lshlrev_b16_e32 v1, 8, v1
	s_waitcnt vmcnt(0)
	v_or_b32_sdwa v1, v10, v1 dst_sel:WORD_1 dst_unused:UNUSED_PAD src0_sel:BYTE_0 src1_sel:DWORD
	s_nop 0
	v_or_b32_sdwa v167, v0, v1 dst_sel:DWORD dst_unused:UNUSED_PAD src0_sel:WORD_0 src1_sel:DWORD
	v_lshlrev_b16_e32 v0, 8, v8
	scratch_load_dword v8, off, off offset:1040 ; 4-byte Folded Reload
	v_lshlrev_b16_e32 v1, 8, v34
	v_or_b32_sdwa v0, v168, v0 dst_sel:DWORD dst_unused:UNUSED_PAD src0_sel:BYTE_0 src1_sel:DWORD
	v_or_b32_sdwa v1, v41, v1 dst_sel:WORD_1 dst_unused:UNUSED_PAD src0_sel:BYTE_0 src1_sel:DWORD
	v_accvgpr_read_b32 v34, a233
	v_or_b32_sdwa v166, v0, v1 dst_sel:DWORD dst_unused:UNUSED_PAD src0_sel:WORD_0 src1_sel:DWORD
	v_lshlrev_b16_e32 v0, 8, v21
	v_lshlrev_b16_e32 v1, 8, v38
	v_or_b32_sdwa v0, v163, v0 dst_sel:DWORD dst_unused:UNUSED_PAD src0_sel:BYTE_0 src1_sel:DWORD
	v_mfma_f32_16x16x32_fp8_fp8 a[144:147], v[146:147], v[166:167], a[144:147]
	s_waitcnt vmcnt(0)
	v_or_b32_sdwa v1, v8, v1 dst_sel:WORD_1 dst_unused:UNUSED_PAD src0_sel:BYTE_0 src1_sel:DWORD
	s_nop 0
	v_or_b32_sdwa v163, v0, v1 dst_sel:DWORD dst_unused:UNUSED_PAD src0_sel:WORD_0 src1_sel:DWORD
	scratch_load_dword v1, off, off offset:1036 ; 4-byte Folded Reload
	v_lshlrev_b16_e32 v0, 8, v18
	v_or_b32_sdwa v0, v162, v0 dst_sel:DWORD dst_unused:UNUSED_PAD src0_sel:BYTE_0 src1_sel:DWORD
	scratch_load_dword v8, off, off offset:1056 ; 4-byte Folded Reload
	v_accvgpr_read_b32 v221, a147
	v_accvgpr_read_b32 v220, a146
	v_accvgpr_read_b32 v219, a145
	v_accvgpr_read_b32 v218, a144
	s_waitcnt vmcnt(1)
	v_lshlrev_b16_e32 v1, 8, v1
	v_or_b32_sdwa v1, v39, v1 dst_sel:WORD_1 dst_unused:UNUSED_PAD src0_sel:BYTE_0 src1_sel:DWORD
	s_nop 0
	v_or_b32_sdwa v162, v0, v1 dst_sel:DWORD dst_unused:UNUSED_PAD src0_sel:WORD_0 src1_sel:DWORD
	v_lshlrev_b16_e32 v0, 8, v15
	v_lshlrev_b16_e32 v1, 8, v40
	v_or_b32_sdwa v0, v165, v0 dst_sel:DWORD dst_unused:UNUSED_PAD src0_sel:BYTE_0 src1_sel:DWORD
	v_or_b32_sdwa v1, v61, v1 dst_sel:WORD_1 dst_unused:UNUSED_PAD src0_sel:BYTE_0 src1_sel:DWORD
	v_mfma_f32_16x16x32_fp8_fp8 a[140:143], v[236:237], v[162:163], a[140:143]
	v_or_b32_sdwa v165, v0, v1 dst_sel:DWORD dst_unused:UNUSED_PAD src0_sel:WORD_0 src1_sel:DWORD
	scratch_load_dword v1, off, off offset:1060 ; 4-byte Folded Reload
	v_lshlrev_b16_e32 v0, 8, v14
	v_or_b32_sdwa v0, v164, v0 dst_sel:DWORD dst_unused:UNUSED_PAD src0_sel:BYTE_0 src1_sel:DWORD
	s_waitcnt vmcnt(0)
	v_lshlrev_b16_e32 v1, 8, v1
	v_or_b32_sdwa v1, v8, v1 dst_sel:WORD_1 dst_unused:UNUSED_PAD src0_sel:BYTE_0 src1_sel:DWORD
	scratch_load_dword v8, off, off offset:988 ; 4-byte Folded Reload
	v_or_b32_sdwa v164, v0, v1 dst_sel:DWORD dst_unused:UNUSED_PAD src0_sel:WORD_0 src1_sel:DWORD
	scratch_load_dword v1, off, off offset:1052 ; 4-byte Folded Reload
	v_accvgpr_read_b32 v0, a240
	v_lshlrev_b16_e32 v0, 8, v0
	v_or_b32_sdwa v0, v159, v0 dst_sel:DWORD dst_unused:UNUSED_PAD src0_sel:BYTE_0 src1_sel:DWORD
	v_mfma_f32_16x16x32_fp8_fp8 a[140:143], v[146:147], v[164:165], a[140:143]
	s_waitcnt vmcnt(0)
	v_lshlrev_b16_e32 v1, 8, v1
	v_or_b32_sdwa v1, v8, v1 dst_sel:WORD_1 dst_unused:UNUSED_PAD src0_sel:BYTE_0 src1_sel:DWORD
	scratch_load_dword v8, off, off offset:936 ; 4-byte Folded Reload
	v_or_b32_sdwa v159, v0, v1 dst_sel:DWORD dst_unused:UNUSED_PAD src0_sel:WORD_0 src1_sel:DWORD
	scratch_load_dword v1, off, off offset:932 ; 4-byte Folded Reload
	v_lshlrev_b16_e32 v0, 8, v9
	v_or_b32_sdwa v0, v158, v0 dst_sel:DWORD dst_unused:UNUSED_PAD src0_sel:BYTE_0 src1_sel:DWORD
	v_accvgpr_read_b32 v12, a140
	v_accvgpr_read_b32 v13, a141
	;; [unrolled: 1-line block ×4, first 2 shown]
	s_waitcnt vmcnt(0)
	v_lshlrev_b16_e32 v1, 8, v1
	v_or_b32_sdwa v1, v8, v1 dst_sel:WORD_1 dst_unused:UNUSED_PAD src0_sel:BYTE_0 src1_sel:DWORD
	s_nop 0
	v_or_b32_sdwa v158, v0, v1 dst_sel:DWORD dst_unused:UNUSED_PAD src0_sel:WORD_0 src1_sel:DWORD
	scratch_load_dword v1, off, off offset:928 ; 4-byte Folded Reload
	v_lshlrev_b16_e32 v0, 8, v7
	scratch_load_dword v7, off, off offset:924 ; 4-byte Folded Reload
	v_or_b32_sdwa v0, v161, v0 dst_sel:DWORD dst_unused:UNUSED_PAD src0_sel:BYTE_0 src1_sel:DWORD
	v_mfma_f32_16x16x32_fp8_fp8 a[136:139], v[236:237], v[158:159], a[136:139]
	s_waitcnt vmcnt(1)
	v_lshlrev_b16_e32 v1, 8, v1
	s_waitcnt vmcnt(0)
	v_or_b32_sdwa v1, v7, v1 dst_sel:WORD_1 dst_unused:UNUSED_PAD src0_sel:BYTE_0 src1_sel:DWORD
	s_nop 0
	v_or_b32_sdwa v161, v0, v1 dst_sel:DWORD dst_unused:UNUSED_PAD src0_sel:WORD_0 src1_sel:DWORD
	scratch_load_dword v1, off, off offset:856 ; 4-byte Folded Reload
	v_lshlrev_b16_e32 v0, 8, v6
	scratch_load_dword v6, off, off offset:852 ; 4-byte Folded Reload
	v_or_b32_sdwa v0, v160, v0 dst_sel:DWORD dst_unused:UNUSED_PAD src0_sel:BYTE_0 src1_sel:DWORD
	s_waitcnt vmcnt(1)
	v_lshlrev_b16_e32 v1, 8, v1
	s_waitcnt vmcnt(0)
	v_or_b32_sdwa v1, v6, v1 dst_sel:WORD_1 dst_unused:UNUSED_PAD src0_sel:BYTE_0 src1_sel:DWORD
	s_nop 0
	v_or_b32_sdwa v160, v0, v1 dst_sel:DWORD dst_unused:UNUSED_PAD src0_sel:WORD_0 src1_sel:DWORD
	scratch_load_dword v1, off, off offset:840 ; 4-byte Folded Reload
	v_lshlrev_b16_e32 v0, 8, v5
	scratch_load_dword v5, off, off offset:836 ; 4-byte Folded Reload
	v_or_b32_sdwa v0, v155, v0 dst_sel:DWORD dst_unused:UNUSED_PAD src0_sel:BYTE_0 src1_sel:DWORD
	v_mfma_f32_16x16x32_fp8_fp8 a[136:139], v[146:147], v[160:161], a[136:139]
	s_waitcnt vmcnt(1)
	v_lshlrev_b16_e32 v1, 8, v1
	s_nop 4
	v_accvgpr_read_b32 v6, a136
	s_waitcnt vmcnt(0)
	v_or_b32_sdwa v1, v5, v1 dst_sel:WORD_1 dst_unused:UNUSED_PAD src0_sel:BYTE_0 src1_sel:DWORD
	v_accvgpr_read_b32 v5, a245
	v_or_b32_sdwa v169, v0, v1 dst_sel:DWORD dst_unused:UNUSED_PAD src0_sel:WORD_0 src1_sel:DWORD
	scratch_load_dword v1, off, off offset:832 ; 4-byte Folded Reload
	v_lshlrev_b16_e32 v0, 8, v4
	scratch_load_dword v4, off, off offset:828 ; 4-byte Folded Reload
	v_or_b32_sdwa v0, v154, v0 dst_sel:DWORD dst_unused:UNUSED_PAD src0_sel:BYTE_0 src1_sel:DWORD
	v_accvgpr_read_b32 v7, a137
	v_accvgpr_read_b32 v8, a138
	;; [unrolled: 1-line block ×3, first 2 shown]
	s_waitcnt vmcnt(1)
	v_lshlrev_b16_e32 v1, 8, v1
	s_waitcnt vmcnt(0)
	v_or_b32_sdwa v1, v4, v1 dst_sel:WORD_1 dst_unused:UNUSED_PAD src0_sel:BYTE_0 src1_sel:DWORD
	s_nop 0
	v_or_b32_sdwa v168, v0, v1 dst_sel:DWORD dst_unused:UNUSED_PAD src0_sel:WORD_0 src1_sel:DWORD
	scratch_load_dword v1, off, off offset:824 ; 4-byte Folded Reload
	scratch_load_dword v4, off, off offset:820 ; 4-byte Folded Reload
	v_lshrrev_b32_e32 v0, 8, v157
	v_lshlrev_b16_e32 v0, 8, v0
	v_or_b32_sdwa v0, v157, v0 dst_sel:DWORD dst_unused:UNUSED_PAD src0_sel:BYTE_0 src1_sel:DWORD
	v_mfma_f32_16x16x32_fp8_fp8 a[132:135], v[236:237], v[168:169], a[132:135]
	s_waitcnt vmcnt(1)
	v_lshlrev_b16_e32 v1, 8, v1
	s_waitcnt vmcnt(0)
	v_or_b32_sdwa v1, v4, v1 dst_sel:WORD_1 dst_unused:UNUSED_PAD src0_sel:BYTE_0 src1_sel:DWORD
	v_accvgpr_read_b32 v4, a244
	v_or_b32_sdwa v149, v0, v1 dst_sel:DWORD dst_unused:UNUSED_PAD src0_sel:WORD_0 src1_sel:DWORD
	scratch_load_dword v1, off, off offset:772 ; 4-byte Folded Reload
	v_lshlrev_b16_e32 v0, 8, v3
	scratch_load_dword v3, off, off offset:744 ; 4-byte Folded Reload
	v_or_b32_sdwa v0, v156, v0 dst_sel:DWORD dst_unused:UNUSED_PAD src0_sel:BYTE_0 src1_sel:DWORD
	v_lshlrev_b16_e32 v4, 8, v4
	v_or_b32_sdwa v4, v5, v4 dst_sel:WORD_1 dst_unused:UNUSED_PAD src0_sel:BYTE_0 src1_sel:DWORD
	v_accvgpr_read_b32 v5, a224
	s_waitcnt vmcnt(1)
	v_lshlrev_b16_e32 v1, 8, v1
	s_waitcnt vmcnt(0)
	v_or_b32_sdwa v1, v3, v1 dst_sel:WORD_1 dst_unused:UNUSED_PAD src0_sel:BYTE_0 src1_sel:DWORD
	s_nop 0
	v_or_b32_sdwa v148, v0, v1 dst_sel:DWORD dst_unused:UNUSED_PAD src0_sel:WORD_0 src1_sel:DWORD
	scratch_load_dword v1, off, off offset:740 ; 4-byte Folded Reload
	v_lshlrev_b16_e32 v0, 8, v2
	scratch_load_dword v2, off, off offset:1032 ; 4-byte Folded Reload
	v_or_b32_sdwa v0, v151, v0 dst_sel:DWORD dst_unused:UNUSED_PAD src0_sel:BYTE_0 src1_sel:DWORD
	v_accvgpr_read_b32 v3, a255
	v_mfma_f32_16x16x32_fp8_fp8 a[132:135], v[146:147], v[148:149], a[132:135]
	s_waitcnt vmcnt(1)
	v_lshlrev_b16_e32 v1, 8, v1
	s_nop 4
	v_accvgpr_read_b32 v16, a132
	s_waitcnt vmcnt(0)
	v_or_b32_sdwa v1, v2, v1 dst_sel:WORD_1 dst_unused:UNUSED_PAD src0_sel:BYTE_0 src1_sel:DWORD
	scratch_load_dword v2, off, off offset:1024 ; 4-byte Folded Reload
	v_or_b32_sdwa v155, v0, v1 dst_sel:DWORD dst_unused:UNUSED_PAD src0_sel:WORD_0 src1_sel:DWORD
	scratch_load_dword v1, off, off offset:1028 ; 4-byte Folded Reload
	v_lshrrev_b32_e32 v0, 8, v150
	v_lshlrev_b16_e32 v0, 8, v0
	v_or_b32_sdwa v0, v150, v0 dst_sel:DWORD dst_unused:UNUSED_PAD src0_sel:BYTE_0 src1_sel:DWORD
	v_accvgpr_read_b32 v17, a133
	v_accvgpr_read_b32 v18, a134
	;; [unrolled: 1-line block ×3, first 2 shown]
	s_waitcnt vmcnt(0)
	v_lshlrev_b16_e32 v1, 8, v1
	v_or_b32_sdwa v1, v2, v1 dst_sel:WORD_1 dst_unused:UNUSED_PAD src0_sel:BYTE_0 src1_sel:DWORD
	scratch_load_dword v2, off, off offset:1016 ; 4-byte Folded Reload
	v_or_b32_sdwa v154, v0, v1 dst_sel:DWORD dst_unused:UNUSED_PAD src0_sel:WORD_0 src1_sel:DWORD
	scratch_load_dword v1, off, off offset:1020 ; 4-byte Folded Reload
	v_lshlrev_b16_e32 v0, 8, v11
	v_or_b32_sdwa v0, v153, v0 dst_sel:DWORD dst_unused:UNUSED_PAD src0_sel:BYTE_0 src1_sel:DWORD
	v_mfma_f32_16x16x32_fp8_fp8 a[128:131], v[236:237], v[154:155], a[128:131]
	s_waitcnt vmcnt(0)
	v_lshlrev_b16_e32 v1, 8, v1
	v_or_b32_sdwa v1, v2, v1 dst_sel:WORD_1 dst_unused:UNUSED_PAD src0_sel:BYTE_0 src1_sel:DWORD
	scratch_load_dword v2, off, off offset:1008 ; 4-byte Folded Reload
	v_or_b32_sdwa v151, v0, v1 dst_sel:DWORD dst_unused:UNUSED_PAD src0_sel:WORD_0 src1_sel:DWORD
	scratch_load_dword v1, off, off offset:1012 ; 4-byte Folded Reload
	v_lshlrev_b16_e32 v0, 8, v183
	v_or_b32_sdwa v0, v152, v0 dst_sel:DWORD dst_unused:UNUSED_PAD src0_sel:BYTE_0 src1_sel:DWORD
	s_waitcnt vmcnt(0)
	v_lshlrev_b16_e32 v1, 8, v1
	v_or_b32_sdwa v1, v2, v1 dst_sel:WORD_1 dst_unused:UNUSED_PAD src0_sel:BYTE_0 src1_sel:DWORD
	v_lshlrev_b16_e32 v2, 8, v57
	v_or_b32_sdwa v150, v0, v1 dst_sel:DWORD dst_unused:UNUSED_PAD src0_sel:WORD_0 src1_sel:DWORD
	v_lshlrev_b16_e32 v0, 8, v238
	v_lshlrev_b16_e32 v1, 8, v59
	v_or_b32_sdwa v0, v139, v0 dst_sel:DWORD dst_unused:UNUSED_PAD src0_sel:BYTE_0 src1_sel:DWORD
	v_or_b32_sdwa v1, v31, v1 dst_sel:WORD_1 dst_unused:UNUSED_PAD src0_sel:BYTE_0 src1_sel:DWORD
	v_or_b32_sdwa v2, v3, v2 dst_sel:WORD_1 dst_unused:UNUSED_PAD src0_sel:BYTE_0 src1_sel:DWORD
	v_or_b32_sdwa v1, v0, v1 dst_sel:DWORD dst_unused:UNUSED_PAD src0_sel:WORD_0 src1_sel:DWORD
	v_lshlrev_b16_e32 v0, 8, v50
	v_or_b32_sdwa v0, v138, v0 dst_sel:DWORD dst_unused:UNUSED_PAD src0_sel:BYTE_0 src1_sel:DWORD
	v_or_b32_sdwa v0, v0, v2 dst_sel:DWORD dst_unused:UNUSED_PAD src0_sel:WORD_0 src1_sel:DWORD
	v_lshlrev_b16_e32 v2, 8, v28
	v_lshlrev_b16_e32 v3, 8, v222
	v_or_b32_sdwa v2, v141, v2 dst_sel:DWORD dst_unused:UNUSED_PAD src0_sel:BYTE_0 src1_sel:DWORD
	v_or_b32_sdwa v3, v27, v3 dst_sel:WORD_1 dst_unused:UNUSED_PAD src0_sel:BYTE_0 src1_sel:DWORD
	v_mfma_f32_16x16x32_fp8_fp8 a[84:87], v[0:1], v[178:179], a[84:87]
	v_or_b32_sdwa v3, v2, v3 dst_sel:DWORD dst_unused:UNUSED_PAD src0_sel:WORD_0 src1_sel:DWORD
	v_lshlrev_b16_e32 v2, 8, v253
	v_or_b32_sdwa v2, v140, v2 dst_sel:DWORD dst_unused:UNUSED_PAD src0_sel:BYTE_0 src1_sel:DWORD
	v_or_b32_sdwa v2, v2, v4 dst_sel:DWORD dst_unused:UNUSED_PAD src0_sel:WORD_0 src1_sel:DWORD
	v_mfma_f32_16x16x32_fp8_fp8 a[88:91], v[0:1], a[250:251], a[88:91]
	v_accvgpr_read_b32 v4, a225
	v_lshlrev_b16_e32 v4, 8, v4
	v_or_b32_sdwa v4, v5, v4 dst_sel:WORD_1 dst_unused:UNUSED_PAD src0_sel:BYTE_0 src1_sel:DWORD
	v_mfma_f32_16x16x32_fp8_fp8 a[244:247], v[2:3], v[176:177], a[84:87]
	v_accvgpr_read_b32 v5, a238
	v_mfma_f32_16x16x32_fp8_fp8 a[84:87], v[0:1], v[174:175], a[116:119]
	v_mfma_f32_16x16x32_fp8_fp8 a[148:151], v[2:3], v[172:173], a[84:87]
	;; [unrolled: 1-line block ×10, first 2 shown]
	v_accvgpr_read_b32 v0, a248
	v_lshlrev_b16_e32 v0, 8, v0
	v_lshlrev_b16_e32 v1, 8, v51
	v_mfma_f32_16x16x32_fp8_fp8 a[152:155], v[2:3], v[180:181], a[88:91]
	v_or_b32_sdwa v0, v135, v0 dst_sel:DWORD dst_unused:UNUSED_PAD src0_sel:BYTE_0 src1_sel:DWORD
	v_mfma_f32_16x16x32_fp8_fp8 a[132:135], v[2:3], v[148:149], a[84:87]
	v_mfma_f32_16x16x32_fp8_fp8 a[88:91], v[2:3], v[150:151], a[80:83]
	v_accvgpr_read_b32 v2, a237
	v_or_b32_sdwa v1, v2, v1 dst_sel:WORD_1 dst_unused:UNUSED_PAD src0_sel:BYTE_0 src1_sel:DWORD
	v_lshlrev_b16_e32 v2, 8, v46
	v_or_b32_sdwa v1, v0, v1 dst_sel:DWORD dst_unused:UNUSED_PAD src0_sel:WORD_0 src1_sel:DWORD
	v_lshlrev_b16_e32 v0, 8, v26
	v_or_b32_sdwa v0, v134, v0 dst_sel:DWORD dst_unused:UNUSED_PAD src0_sel:BYTE_0 src1_sel:DWORD
	v_or_b32_sdwa v2, v52, v2 dst_sel:WORD_1 dst_unused:UNUSED_PAD src0_sel:BYTE_0 src1_sel:DWORD
	v_accvgpr_read_b32 v3, a253
	v_or_b32_sdwa v0, v0, v2 dst_sel:DWORD dst_unused:UNUSED_PAD src0_sel:WORD_0 src1_sel:DWORD
	v_lshlrev_b16_e32 v2, 8, v25
	v_lshlrev_b16_e32 v3, 8, v3
	v_or_b32_sdwa v2, v137, v2 dst_sel:DWORD dst_unused:UNUSED_PAD src0_sel:BYTE_0 src1_sel:DWORD
	v_or_b32_sdwa v3, v184, v3 dst_sel:WORD_1 dst_unused:UNUSED_PAD src0_sel:BYTE_0 src1_sel:DWORD
	v_mfma_f32_16x16x32_fp8_fp8 a[44:47], v[0:1], v[158:159], a[44:47]
	v_or_b32_sdwa v3, v2, v3 dst_sel:DWORD dst_unused:UNUSED_PAD src0_sel:WORD_0 src1_sel:DWORD
	v_accvgpr_read_b32 v2, a243
	v_lshlrev_b16_e32 v2, 8, v2
	v_or_b32_sdwa v2, v136, v2 dst_sel:DWORD dst_unused:UNUSED_PAD src0_sel:BYTE_0 src1_sel:DWORD
	v_or_b32_sdwa v2, v2, v4 dst_sel:DWORD dst_unused:UNUSED_PAD src0_sel:WORD_0 src1_sel:DWORD
	v_mfma_f32_16x16x32_fp8_fp8 a[68:71], v[0:1], a[250:251], a[68:71]
	v_accvgpr_read_b32 v4, a236
	v_lshlrev_b16_e32 v4, 8, v4
	v_or_b32_sdwa v4, v182, v4 dst_sel:WORD_1 dst_unused:UNUSED_PAD src0_sel:BYTE_0 src1_sel:DWORD
	v_mfma_f32_16x16x32_fp8_fp8 a[64:67], v[0:1], v[178:179], a[64:67]
	v_mfma_f32_16x16x32_fp8_fp8 a[60:63], v[0:1], v[174:175], a[60:63]
	;; [unrolled: 1-line block ×7, first 2 shown]
	v_lshlrev_b16_e32 v0, 8, v235
	v_lshlrev_b16_e32 v1, 8, v185
	v_or_b32_sdwa v0, v127, v0 dst_sel:DWORD dst_unused:UNUSED_PAD src0_sel:BYTE_0 src1_sel:DWORD
	v_or_b32_sdwa v1, v226, v1 dst_sel:WORD_1 dst_unused:UNUSED_PAD src0_sel:BYTE_0 src1_sel:DWORD
	v_mfma_f32_16x16x32_fp8_fp8 a[156:159], v[146:147], v[150:151], a[128:131]
	v_or_b32_sdwa v1, v0, v1 dst_sel:DWORD dst_unused:UNUSED_PAD src0_sel:WORD_0 src1_sel:DWORD
	v_lshlrev_b16_e32 v0, 8, v29
	v_or_b32_sdwa v0, v126, v0 dst_sel:DWORD dst_unused:UNUSED_PAD src0_sel:BYTE_0 src1_sel:DWORD
	v_mfma_f32_16x16x32_fp8_fp8 a[116:119], v[2:3], v[180:181], a[68:71]
	v_mfma_f32_16x16x32_fp8_fp8 a[128:131], v[2:3], v[176:177], a[64:67]
	;; [unrolled: 1-line block ×7, first 2 shown]
	v_lshlrev_b16_e32 v2, 8, v53
	v_accvgpr_read_b32 v3, a242
	v_or_b32_sdwa v2, v3, v2 dst_sel:WORD_1 dst_unused:UNUSED_PAD src0_sel:BYTE_0 src1_sel:DWORD
	v_lshlrev_b16_e32 v3, 8, v56
	v_or_b32_sdwa v0, v0, v2 dst_sel:DWORD dst_unused:UNUSED_PAD src0_sel:WORD_0 src1_sel:DWORD
	v_lshlrev_b16_e32 v2, 8, v212
	v_or_b32_sdwa v2, v129, v2 dst_sel:DWORD dst_unused:UNUSED_PAD src0_sel:BYTE_0 src1_sel:DWORD
	v_or_b32_sdwa v3, v224, v3 dst_sel:WORD_1 dst_unused:UNUSED_PAD src0_sel:BYTE_0 src1_sel:DWORD
	v_mfma_f32_16x16x32_fp8_fp8 a[28:31], v[0:1], a[250:251], a[28:31]
	v_or_b32_sdwa v3, v2, v3 dst_sel:DWORD dst_unused:UNUSED_PAD src0_sel:WORD_0 src1_sel:DWORD
	v_lshlrev_b16_e32 v2, 8, v245
	v_or_b32_sdwa v2, v128, v2 dst_sel:DWORD dst_unused:UNUSED_PAD src0_sel:BYTE_0 src1_sel:DWORD
	v_or_b32_sdwa v2, v2, v4 dst_sel:DWORD dst_unused:UNUSED_PAD src0_sel:WORD_0 src1_sel:DWORD
	v_accvgpr_read_b32 v4, a232
	s_nop 0
	v_mfma_f32_16x16x32_fp8_fp8 a[64:67], v[2:3], v[180:181], a[28:31]
	v_mfma_f32_16x16x32_fp8_fp8 a[28:31], v[0:1], v[178:179], a[32:35]
	;; [unrolled: 1-line block ×14, first 2 shown]
	v_lshlrev_b16_e32 v0, 8, v187
	v_lshlrev_b16_e32 v1, 8, v225
	v_or_b32_sdwa v0, v119, v0 dst_sel:DWORD dst_unused:UNUSED_PAD src0_sel:BYTE_0 src1_sel:DWORD
	v_or_b32_sdwa v1, v58, v1 dst_sel:WORD_1 dst_unused:UNUSED_PAD src0_sel:BYTE_0 src1_sel:DWORD
	v_mfma_f32_16x16x32_fp8_fp8 a[72:75], v[2:3], v[150:151], a[28:31]
	v_or_b32_sdwa v1, v0, v1 dst_sel:DWORD dst_unused:UNUSED_PAD src0_sel:WORD_0 src1_sel:DWORD
	v_lshlrev_b16_e32 v0, 8, v255
	v_lshlrev_b16_e32 v2, 8, v223
	v_or_b32_sdwa v0, v118, v0 dst_sel:DWORD dst_unused:UNUSED_PAD src0_sel:BYTE_0 src1_sel:DWORD
	v_or_b32_sdwa v2, v54, v2 dst_sel:WORD_1 dst_unused:UNUSED_PAD src0_sel:BYTE_0 src1_sel:DWORD
	v_accvgpr_read_b32 v3, a235
	v_or_b32_sdwa v0, v0, v2 dst_sel:DWORD dst_unused:UNUSED_PAD src0_sel:WORD_0 src1_sel:DWORD
	v_lshlrev_b16_e32 v2, 8, v45
	v_lshlrev_b16_e32 v3, 8, v3
	v_or_b32_sdwa v2, v121, v2 dst_sel:DWORD dst_unused:UNUSED_PAD src0_sel:BYTE_0 src1_sel:DWORD
	v_or_b32_sdwa v3, v4, v3 dst_sel:WORD_1 dst_unused:UNUSED_PAD src0_sel:BYTE_0 src1_sel:DWORD
	v_accvgpr_read_b32 v4, a239
	v_or_b32_sdwa v3, v2, v3 dst_sel:DWORD dst_unused:UNUSED_PAD src0_sel:WORD_0 src1_sel:DWORD
	v_lshlrev_b16_e32 v2, 8, v34
	v_lshlrev_b16_e32 v4, 8, v4
	v_or_b32_sdwa v2, v120, v2 dst_sel:DWORD dst_unused:UNUSED_PAD src0_sel:BYTE_0 src1_sel:DWORD
	v_or_b32_sdwa v4, v5, v4 dst_sel:WORD_1 dst_unused:UNUSED_PAD src0_sel:BYTE_0 src1_sel:DWORD
	v_mfma_f32_16x16x32_fp8_fp8 a[28:31], v[0:1], a[250:251], a[36:39]
	v_or_b32_sdwa v2, v2, v4 dst_sel:DWORD dst_unused:UNUSED_PAD src0_sel:WORD_0 src1_sel:DWORD
	scratch_load_dword v4, off, off offset:292 ; 4-byte Folded Reload
	scratch_load_dword v5, off, off offset:168 ; 4-byte Folded Reload
	v_mfma_f32_16x16x32_fp8_fp8 a[56:59], v[2:3], v[180:181], a[28:31]
	v_mfma_f32_16x16x32_fp8_fp8 a[28:31], v[0:1], v[178:179], a[168:171]
	;; [unrolled: 1-line block ×14, first 2 shown]
	v_lshrrev_b32_e32 v0, 8, v111
	v_accvgpr_read_b32 v1, a241
	v_lshlrev_b16_e32 v0, 8, v0
	v_mfma_f32_16x16x32_fp8_fp8 a[228:231], v[2:3], v[150:151], a[28:31]
	scratch_load_dword v3, off, off offset:296 ; 4-byte Folded Reload
	v_lshlrev_b16_e32 v1, 8, v1
	v_or_b32_sdwa v0, v111, v0 dst_sel:DWORD dst_unused:UNUSED_PAD src0_sel:BYTE_0 src1_sel:DWORD
	v_or_b32_sdwa v1, v252, v1 dst_sel:WORD_1 dst_unused:UNUSED_PAD src0_sel:BYTE_0 src1_sel:DWORD
	v_lshlrev_b16_e32 v2, 8, v254
	v_or_b32_sdwa v1, v0, v1 dst_sel:DWORD dst_unused:UNUSED_PAD src0_sel:WORD_0 src1_sel:DWORD
	v_lshrrev_b32_e32 v0, 8, v110
	v_lshlrev_b16_e32 v0, 8, v0
	v_or_b32_sdwa v0, v110, v0 dst_sel:DWORD dst_unused:UNUSED_PAD src0_sel:BYTE_0 src1_sel:DWORD
	v_or_b32_sdwa v2, v186, v2 dst_sel:WORD_1 dst_unused:UNUSED_PAD src0_sel:BYTE_0 src1_sel:DWORD
	s_waitcnt vmcnt(0)
	v_lshlrev_b16_e32 v3, 8, v3
	v_or_b32_sdwa v0, v0, v2 dst_sel:DWORD dst_unused:UNUSED_PAD src0_sel:WORD_0 src1_sel:DWORD
	v_lshrrev_b32_e32 v2, 8, v113
	v_lshlrev_b16_e32 v2, 8, v2
	v_or_b32_sdwa v2, v113, v2 dst_sel:DWORD dst_unused:UNUSED_PAD src0_sel:BYTE_0 src1_sel:DWORD
	v_or_b32_sdwa v3, v4, v3 dst_sel:WORD_1 dst_unused:UNUSED_PAD src0_sel:BYTE_0 src1_sel:DWORD
	v_lshlrev_b16_e32 v4, 8, v199
	v_or_b32_sdwa v3, v2, v3 dst_sel:DWORD dst_unused:UNUSED_PAD src0_sel:WORD_0 src1_sel:DWORD
	v_lshrrev_b32_e32 v2, 8, v112
	v_lshlrev_b16_e32 v2, 8, v2
	v_or_b32_sdwa v2, v112, v2 dst_sel:DWORD dst_unused:UNUSED_PAD src0_sel:BYTE_0 src1_sel:DWORD
	v_or_b32_sdwa v4, v250, v4 dst_sel:WORD_1 dst_unused:UNUSED_PAD src0_sel:BYTE_0 src1_sel:DWORD
	v_mfma_f32_16x16x32_fp8_fp8 a[28:31], v[0:1], a[250:251], a[160:163]
	v_or_b32_sdwa v2, v2, v4 dst_sel:DWORD dst_unused:UNUSED_PAD src0_sel:WORD_0 src1_sel:DWORD
	scratch_load_dword v4, off, off offset:200 ; 4-byte Folded Reload
	s_nop 0
	v_mfma_f32_16x16x32_fp8_fp8 a[240:243], v[2:3], v[180:181], a[28:31]
	v_mfma_f32_16x16x32_fp8_fp8 a[28:31], v[0:1], v[178:179], a[164:167]
	;; [unrolled: 1-line block ×14, first 2 shown]
	scratch_load_dword v1, off, off offset:272 ; 4-byte Folded Reload
	v_lshrrev_b32_e32 v0, 8, v87
	v_lshlrev_b16_e32 v0, 8, v0
	v_mfma_f32_16x16x32_fp8_fp8 a[220:223], v[2:3], v[150:151], a[28:31]
	scratch_load_dword v2, off, off offset:264 ; 4-byte Folded Reload
	scratch_load_dword v3, off, off offset:252 ; 4-byte Folded Reload
	v_or_b32_sdwa v0, v87, v0 dst_sel:DWORD dst_unused:UNUSED_PAD src0_sel:BYTE_0 src1_sel:DWORD
	s_waitcnt vmcnt(2)
	v_lshlrev_b16_e32 v1, 8, v1
	s_waitcnt vmcnt(1)
	v_or_b32_sdwa v1, v2, v1 dst_sel:WORD_1 dst_unused:UNUSED_PAD src0_sel:BYTE_0 src1_sel:DWORD
	scratch_load_dword v2, off, off offset:260 ; 4-byte Folded Reload
	v_or_b32_sdwa v1, v0, v1 dst_sel:DWORD dst_unused:UNUSED_PAD src0_sel:WORD_0 src1_sel:DWORD
	v_lshrrev_b32_e32 v0, 8, v86
	v_lshlrev_b16_e32 v0, 8, v0
	v_or_b32_sdwa v0, v86, v0 dst_sel:DWORD dst_unused:UNUSED_PAD src0_sel:BYTE_0 src1_sel:DWORD
	s_waitcnt vmcnt(0)
	v_lshlrev_b16_e32 v2, 8, v2
	v_or_b32_sdwa v2, v3, v2 dst_sel:WORD_1 dst_unused:UNUSED_PAD src0_sel:BYTE_0 src1_sel:DWORD
	scratch_load_dword v3, off, off offset:204 ; 4-byte Folded Reload
	v_or_b32_sdwa v0, v0, v2 dst_sel:DWORD dst_unused:UNUSED_PAD src0_sel:WORD_0 src1_sel:DWORD
	v_lshrrev_b32_e32 v2, 8, v89
	v_lshlrev_b16_e32 v2, 8, v2
	v_or_b32_sdwa v2, v89, v2 dst_sel:DWORD dst_unused:UNUSED_PAD src0_sel:BYTE_0 src1_sel:DWORD
	v_mfma_f32_16x16x32_fp8_fp8 a[0:3], v[0:1], v[168:169], a[0:3]
	s_waitcnt vmcnt(0)
	v_lshlrev_b16_e32 v3, 8, v3
	v_or_b32_sdwa v3, v4, v3 dst_sel:WORD_1 dst_unused:UNUSED_PAD src0_sel:BYTE_0 src1_sel:DWORD
	scratch_load_dword v4, off, off offset:196 ; 4-byte Folded Reload
	v_or_b32_sdwa v3, v2, v3 dst_sel:DWORD dst_unused:UNUSED_PAD src0_sel:WORD_0 src1_sel:DWORD
	v_lshrrev_b32_e32 v2, 8, v88
	v_lshlrev_b16_e32 v2, 8, v2
	v_or_b32_sdwa v2, v88, v2 dst_sel:DWORD dst_unused:UNUSED_PAD src0_sel:BYTE_0 src1_sel:DWORD
	v_mfma_f32_16x16x32_fp8_fp8 a[28:31], v[0:1], a[250:251], a[204:207]
	s_waitcnt vmcnt(0)
	v_lshlrev_b16_e32 v4, 8, v4
	v_or_b32_sdwa v4, v5, v4 dst_sel:WORD_1 dst_unused:UNUSED_PAD src0_sel:BYTE_0 src1_sel:DWORD
	v_mfma_f32_16x16x32_fp8_fp8 a[24:27], v[0:1], v[178:179], a[24:27]
	v_or_b32_sdwa v2, v2, v4 dst_sel:DWORD dst_unused:UNUSED_PAD src0_sel:WORD_0 src1_sel:DWORD
	scratch_load_dword v4, off, off offset:364 ; 4-byte Folded Reload
	scratch_load_dword v5, off, off offset:156 ; 4-byte Folded Reload
	v_mfma_f32_16x16x32_fp8_fp8 a[20:23], v[0:1], v[174:175], a[20:23]
	v_mfma_f32_16x16x32_fp8_fp8 a[16:19], v[0:1], v[170:171], a[16:19]
	;; [unrolled: 1-line block ×6, first 2 shown]
	scratch_load_dword v1, off, off offset:228 ; 4-byte Folded Reload
	v_lshlrev_b16_e32 v0, 8, v192
	v_or_b32_sdwa v0, v107, v0 dst_sel:DWORD dst_unused:UNUSED_PAD src0_sel:BYTE_0 src1_sel:DWORD
	v_mfma_f32_16x16x32_fp8_fp8 a[248:251], v[2:3], v[180:181], a[28:31]
	s_waitcnt vmcnt(0)
	v_lshlrev_b16_e32 v1, 8, v1
	v_mfma_f32_16x16x32_fp8_fp8 a[252:255], v[2:3], v[176:177], a[24:27]
	v_mfma_f32_16x16x32_fp8_fp8 a[200:203], v[2:3], v[172:173], a[20:23]
	;; [unrolled: 1-line block ×6, first 2 shown]
	scratch_load_dword v2, off, off offset:224 ; 4-byte Folded Reload
	scratch_load_dword v3, off, off offset:312 ; 4-byte Folded Reload
	s_waitcnt vmcnt(1)
	v_or_b32_sdwa v1, v2, v1 dst_sel:WORD_1 dst_unused:UNUSED_PAD src0_sel:BYTE_0 src1_sel:DWORD
	s_nop 0
	v_or_b32_sdwa v89, v0, v1 dst_sel:DWORD dst_unused:UNUSED_PAD src0_sel:WORD_0 src1_sel:DWORD
	scratch_load_dword v1, off, off offset:220 ; 4-byte Folded Reload
	scratch_load_dword v2, off, off offset:236 ; 4-byte Folded Reload
	v_lshlrev_b16_e32 v0, 8, v208
	v_or_b32_sdwa v0, v106, v0 dst_sel:DWORD dst_unused:UNUSED_PAD src0_sel:BYTE_0 src1_sel:DWORD
	v_accvgpr_write_b32 a0, v188
	v_accvgpr_write_b32 a1, v189
	;; [unrolled: 1-line block ×4, first 2 shown]
	s_waitcnt vmcnt(1)
	v_lshlrev_b16_e32 v1, 8, v1
	s_waitcnt vmcnt(0)
	v_or_b32_sdwa v1, v2, v1 dst_sel:WORD_1 dst_unused:UNUSED_PAD src0_sel:BYTE_0 src1_sel:DWORD
	scratch_load_dword v2, off, off offset:340 ; 4-byte Folded Reload
	v_or_b32_sdwa v88, v0, v1 dst_sel:DWORD dst_unused:UNUSED_PAD src0_sel:WORD_0 src1_sel:DWORD
	scratch_load_dword v1, off, off offset:396 ; 4-byte Folded Reload
	v_lshlrev_b16_e32 v0, 8, v209
	v_or_b32_sdwa v0, v123, v0 dst_sel:DWORD dst_unused:UNUSED_PAD src0_sel:BYTE_0 src1_sel:DWORD
	s_waitcnt vmcnt(0)
	v_lshlrev_b16_e32 v1, 8, v1
	v_or_b32_sdwa v1, v2, v1 dst_sel:WORD_1 dst_unused:UNUSED_PAD src0_sel:BYTE_0 src1_sel:DWORD
	scratch_load_dword v2, off, off offset:332 ; 4-byte Folded Reload
	v_or_b32_sdwa v107, v0, v1 dst_sel:DWORD dst_unused:UNUSED_PAD src0_sel:WORD_0 src1_sel:DWORD
	scratch_load_dword v1, off, off offset:336 ; 4-byte Folded Reload
	v_lshlrev_b16_e32 v0, 8, v216
	v_or_b32_sdwa v0, v122, v0 dst_sel:DWORD dst_unused:UNUSED_PAD src0_sel:BYTE_0 src1_sel:DWORD
	s_waitcnt vmcnt(0)
	v_lshlrev_b16_e32 v1, 8, v1
	v_or_b32_sdwa v1, v2, v1 dst_sel:WORD_1 dst_unused:UNUSED_PAD src0_sel:BYTE_0 src1_sel:DWORD
	scratch_load_dword v2, off, off offset:232 ; 4-byte Folded Reload
	v_or_b32_sdwa v106, v0, v1 dst_sel:DWORD dst_unused:UNUSED_PAD src0_sel:WORD_0 src1_sel:DWORD
	scratch_load_dword v1, off, off offset:208 ; 4-byte Folded Reload
	v_lshrrev_b32_e32 v0, 8, v109
	v_lshlrev_b16_e32 v0, 8, v0
	v_or_b32_sdwa v0, v109, v0 dst_sel:DWORD dst_unused:UNUSED_PAD src0_sel:BYTE_0 src1_sel:DWORD
	v_mfma_f32_16x16x32_fp8_fp8 a[0:3], v[88:89], v[106:107], a[0:3]
	s_waitcnt vmcnt(0)
	v_lshlrev_b16_e32 v1, 8, v1
	v_or_b32_sdwa v1, v2, v1 dst_sel:WORD_1 dst_unused:UNUSED_PAD src0_sel:BYTE_0 src1_sel:DWORD
	scratch_load_dword v2, off, off offset:212 ; 4-byte Folded Reload
	v_or_b32_sdwa v37, v0, v1 dst_sel:DWORD dst_unused:UNUSED_PAD src0_sel:WORD_0 src1_sel:DWORD
	scratch_load_dword v1, off, off offset:216 ; 4-byte Folded Reload
	v_lshrrev_b32_e32 v0, 8, v108
	v_lshlrev_b16_e32 v0, 8, v0
	v_or_b32_sdwa v0, v108, v0 dst_sel:DWORD dst_unused:UNUSED_PAD src0_sel:BYTE_0 src1_sel:DWORD
	s_waitcnt vmcnt(0)
	v_lshlrev_b16_e32 v1, 8, v1
	v_or_b32_sdwa v1, v2, v1 dst_sel:WORD_1 dst_unused:UNUSED_PAD src0_sel:BYTE_0 src1_sel:DWORD
	scratch_load_dword v2, off, off offset:320 ; 4-byte Folded Reload
	v_or_b32_sdwa v36, v0, v1 dst_sel:DWORD dst_unused:UNUSED_PAD src0_sel:WORD_0 src1_sel:DWORD
	v_lshlrev_b16_e32 v0, 8, v32
	v_lshlrev_b16_e32 v1, 8, v30
	v_or_b32_sdwa v0, v125, v0 dst_sel:DWORD dst_unused:UNUSED_PAD src0_sel:BYTE_0 src1_sel:DWORD
	s_waitcnt vmcnt(0)
	v_or_b32_sdwa v1, v2, v1 dst_sel:WORD_1 dst_unused:UNUSED_PAD src0_sel:BYTE_0 src1_sel:DWORD
	s_nop 0
	v_or_b32_sdwa v109, v0, v1 dst_sel:DWORD dst_unused:UNUSED_PAD src0_sel:WORD_0 src1_sel:DWORD
	scratch_load_dword v1, off, off offset:308 ; 4-byte Folded Reload
	scratch_load_dword v2, off, off offset:300 ; 4-byte Folded Reload
	v_lshrrev_b32_e32 v0, 8, v124
	v_lshlrev_b16_e32 v0, 8, v0
	v_or_b32_sdwa v0, v124, v0 dst_sel:DWORD dst_unused:UNUSED_PAD src0_sel:BYTE_0 src1_sel:DWORD
	s_waitcnt vmcnt(1)
	v_lshlrev_b16_e32 v1, 8, v1
	s_waitcnt vmcnt(0)
	v_or_b32_sdwa v1, v2, v1 dst_sel:WORD_1 dst_unused:UNUSED_PAD src0_sel:BYTE_0 src1_sel:DWORD
	scratch_load_dword v2, off, off offset:328 ; 4-byte Folded Reload
	v_or_b32_sdwa v108, v0, v1 dst_sel:DWORD dst_unused:UNUSED_PAD src0_sel:WORD_0 src1_sel:DWORD
	scratch_load_dword v1, off, off offset:324 ; 4-byte Folded Reload
	v_lshlrev_b16_e32 v0, 8, v234
	v_or_b32_sdwa v0, v115, v0 dst_sel:DWORD dst_unused:UNUSED_PAD src0_sel:BYTE_0 src1_sel:DWORD
	v_mfma_f32_16x16x32_fp8_fp8 a[28:31], v[36:37], v[108:109], a[0:3]
	s_waitcnt vmcnt(0)
	v_lshlrev_b16_e32 v1, 8, v1
	v_or_b32_sdwa v1, v2, v1 dst_sel:WORD_1 dst_unused:UNUSED_PAD src0_sel:BYTE_0 src1_sel:DWORD
	scratch_load_dword v2, off, off offset:316 ; 4-byte Folded Reload
	v_or_b32_sdwa v1, v0, v1 dst_sel:DWORD dst_unused:UNUSED_PAD src0_sel:WORD_0 src1_sel:DWORD
	v_lshlrev_b16_e32 v0, 8, v230
	v_or_b32_sdwa v0, v114, v0 dst_sel:DWORD dst_unused:UNUSED_PAD src0_sel:BYTE_0 src1_sel:DWORD
	v_accvgpr_write_b32 a0, v240
	v_accvgpr_write_b32 a1, v241
	;; [unrolled: 1-line block ×4, first 2 shown]
	s_waitcnt vmcnt(0)
	v_lshlrev_b16_e32 v2, 8, v2
	v_or_b32_sdwa v2, v3, v2 dst_sel:WORD_1 dst_unused:UNUSED_PAD src0_sel:BYTE_0 src1_sel:DWORD
	scratch_load_dword v3, off, off offset:380 ; 4-byte Folded Reload
	v_or_b32_sdwa v0, v0, v2 dst_sel:DWORD dst_unused:UNUSED_PAD src0_sel:WORD_0 src1_sel:DWORD
	v_lshlrev_b16_e32 v2, 8, v233
	v_or_b32_sdwa v2, v117, v2 dst_sel:DWORD dst_unused:UNUSED_PAD src0_sel:BYTE_0 src1_sel:DWORD
	v_mfma_f32_16x16x32_fp8_fp8 a[0:3], v[88:89], v[0:1], a[0:3]
	s_waitcnt vmcnt(0)
	v_lshlrev_b16_e32 v3, 8, v3
	v_or_b32_sdwa v3, v4, v3 dst_sel:WORD_1 dst_unused:UNUSED_PAD src0_sel:BYTE_0 src1_sel:DWORD
	scratch_load_dword v4, off, off offset:304 ; 4-byte Folded Reload
	v_or_b32_sdwa v111, v2, v3 dst_sel:DWORD dst_unused:UNUSED_PAD src0_sel:WORD_0 src1_sel:DWORD
	scratch_load_dword v3, off, off offset:348 ; 4-byte Folded Reload
	v_lshlrev_b16_e32 v2, 8, v229
	v_or_b32_sdwa v2, v116, v2 dst_sel:DWORD dst_unused:UNUSED_PAD src0_sel:BYTE_0 src1_sel:DWORD
	s_waitcnt vmcnt(0)
	v_lshlrev_b16_e32 v3, 8, v3
	v_or_b32_sdwa v3, v4, v3 dst_sel:WORD_1 dst_unused:UNUSED_PAD src0_sel:BYTE_0 src1_sel:DWORD
	scratch_load_dword v4, off, off offset:544 ; 4-byte Folded Reload
	v_or_b32_sdwa v110, v2, v3 dst_sel:DWORD dst_unused:UNUSED_PAD src0_sel:WORD_0 src1_sel:DWORD
	v_lshlrev_b16_e32 v2, 8, v215
	v_lshlrev_b16_e32 v3, 8, v217
	v_or_b32_sdwa v2, v143, v2 dst_sel:DWORD dst_unused:UNUSED_PAD src0_sel:BYTE_0 src1_sel:DWORD
	v_or_b32_sdwa v3, v214, v3 dst_sel:WORD_1 dst_unused:UNUSED_PAD src0_sel:BYTE_0 src1_sel:DWORD
	v_mfma_f32_16x16x32_fp8_fp8 a[16:19], v[36:37], v[110:111], a[0:3]
	v_or_b32_sdwa v11, v2, v3 dst_sel:DWORD dst_unused:UNUSED_PAD src0_sel:WORD_0 src1_sel:DWORD
	v_lshlrev_b16_e32 v2, 8, v211
	v_lshlrev_b16_e32 v3, 8, v197
	v_or_b32_sdwa v2, v142, v2 dst_sel:DWORD dst_unused:UNUSED_PAD src0_sel:BYTE_0 src1_sel:DWORD
	v_or_b32_sdwa v3, v196, v3 dst_sel:WORD_1 dst_unused:UNUSED_PAD src0_sel:BYTE_0 src1_sel:DWORD
	v_accvgpr_write_b32 a0, v246
	v_or_b32_sdwa v10, v2, v3 dst_sel:DWORD dst_unused:UNUSED_PAD src0_sel:WORD_0 src1_sel:DWORD
	v_lshlrev_b16_e32 v2, 8, v204
	v_lshlrev_b16_e32 v3, 8, v200
	v_or_b32_sdwa v2, v145, v2 dst_sel:DWORD dst_unused:UNUSED_PAD src0_sel:BYTE_0 src1_sel:DWORD
	v_or_b32_sdwa v3, v198, v3 dst_sel:WORD_1 dst_unused:UNUSED_PAD src0_sel:BYTE_0 src1_sel:DWORD
	v_accvgpr_write_b32 a1, v247
	v_or_b32_sdwa v33, v2, v3 dst_sel:DWORD dst_unused:UNUSED_PAD src0_sel:WORD_0 src1_sel:DWORD
	v_lshlrev_b16_e32 v2, 8, v203
	v_lshlrev_b16_e32 v3, 8, v195
	v_or_b32_sdwa v2, v144, v2 dst_sel:DWORD dst_unused:UNUSED_PAD src0_sel:BYTE_0 src1_sel:DWORD
	v_accvgpr_write_b32 a2, v248
	v_accvgpr_write_b32 a3, v249
	s_waitcnt vmcnt(0)
	v_or_b32_sdwa v3, v4, v3 dst_sel:WORD_1 dst_unused:UNUSED_PAD src0_sel:BYTE_0 src1_sel:DWORD
	s_nop 0
	v_or_b32_sdwa v32, v2, v3 dst_sel:DWORD dst_unused:UNUSED_PAD src0_sel:WORD_0 src1_sel:DWORD
	scratch_load_dword v3, off, off offset:528 ; 4-byte Folded Reload
	scratch_load_dword v4, off, off offset:512 ; 4-byte Folded Reload
	v_lshlrev_b16_e32 v2, 8, v202
	v_or_b32_sdwa v2, v131, v2 dst_sel:DWORD dst_unused:UNUSED_PAD src0_sel:BYTE_0 src1_sel:DWORD
	v_mfma_f32_16x16x32_fp8_fp8 a[0:3], v[88:89], v[10:11], a[0:3]
	s_waitcnt vmcnt(1)
	v_lshlrev_b16_e32 v3, 8, v3
	s_waitcnt vmcnt(0)
	v_or_b32_sdwa v3, v4, v3 dst_sel:WORD_1 dst_unused:UNUSED_PAD src0_sel:BYTE_0 src1_sel:DWORD
	scratch_load_dword v4, off, off offset:496 ; 4-byte Folded Reload
	v_or_b32_sdwa v29, v2, v3 dst_sel:DWORD dst_unused:UNUSED_PAD src0_sel:WORD_0 src1_sel:DWORD
	v_lshlrev_b16_e32 v2, 8, v231
	v_lshlrev_b16_e32 v3, 8, v194
	v_or_b32_sdwa v2, v130, v2 dst_sel:DWORD dst_unused:UNUSED_PAD src0_sel:BYTE_0 src1_sel:DWORD
	v_or_b32_sdwa v3, v193, v3 dst_sel:WORD_1 dst_unused:UNUSED_PAD src0_sel:BYTE_0 src1_sel:DWORD
	v_mfma_f32_16x16x32_fp8_fp8 a[32:35], v[36:37], v[32:33], a[0:3]
	v_or_b32_sdwa v28, v2, v3 dst_sel:DWORD dst_unused:UNUSED_PAD src0_sel:WORD_0 src1_sel:DWORD
	v_lshlrev_b16_e32 v3, 8, v201
	v_lshlrev_b16_e32 v2, 8, v232
	v_or_b32_sdwa v2, v133, v2 dst_sel:DWORD dst_unused:UNUSED_PAD src0_sel:BYTE_0 src1_sel:DWORD
	v_accvgpr_write_b32 a0, v218
	v_accvgpr_write_b32 a1, v219
	;; [unrolled: 1-line block ×4, first 2 shown]
	s_waitcnt vmcnt(0)
	v_or_b32_sdwa v3, v4, v3 dst_sel:WORD_1 dst_unused:UNUSED_PAD src0_sel:BYTE_0 src1_sel:DWORD
	scratch_load_dword v4, off, off offset:492 ; 4-byte Folded Reload
	v_or_b32_sdwa v61, v2, v3 dst_sel:DWORD dst_unused:UNUSED_PAD src0_sel:WORD_0 src1_sel:DWORD
	v_lshlrev_b16_e32 v2, 8, v213
	v_lshlrev_b16_e32 v3, 8, v24
	v_or_b32_sdwa v2, v132, v2 dst_sel:DWORD dst_unused:UNUSED_PAD src0_sel:BYTE_0 src1_sel:DWORD
	v_mfma_f32_16x16x32_fp8_fp8 a[0:3], v[88:89], v[28:29], a[0:3]
	s_waitcnt vmcnt(0)
	v_or_b32_sdwa v3, v4, v3 dst_sel:WORD_1 dst_unused:UNUSED_PAD src0_sel:BYTE_0 src1_sel:DWORD
	s_nop 0
	v_or_b32_sdwa v60, v2, v3 dst_sel:DWORD dst_unused:UNUSED_PAD src0_sel:WORD_0 src1_sel:DWORD
	scratch_load_dword v3, off, off offset:476 ; 4-byte Folded Reload
	scratch_load_dword v4, off, off offset:984 ; 4-byte Folded Reload
	v_lshrrev_b32_e32 v2, 8, v99
	v_lshlrev_b16_e32 v2, 8, v2
	v_or_b32_sdwa v2, v99, v2 dst_sel:DWORD dst_unused:UNUSED_PAD src0_sel:BYTE_0 src1_sel:DWORD
	v_mfma_f32_16x16x32_fp8_fp8 a[20:23], v[36:37], v[60:61], a[0:3]
	s_waitcnt vmcnt(1)
	v_lshlrev_b16_e32 v3, 8, v3
	s_waitcnt vmcnt(0)
	v_or_b32_sdwa v3, v4, v3 dst_sel:WORD_1 dst_unused:UNUSED_PAD src0_sel:BYTE_0 src1_sel:DWORD
	scratch_load_dword v4, off, off offset:976 ; 4-byte Folded Reload
	v_or_b32_sdwa v87, v2, v3 dst_sel:DWORD dst_unused:UNUSED_PAD src0_sel:WORD_0 src1_sel:DWORD
	scratch_load_dword v3, off, off offset:980 ; 4-byte Folded Reload
	v_lshrrev_b32_e32 v2, 8, v98
	v_lshlrev_b16_e32 v2, 8, v2
	v_or_b32_sdwa v2, v98, v2 dst_sel:DWORD dst_unused:UNUSED_PAD src0_sel:BYTE_0 src1_sel:DWORD
	v_accvgpr_write_b32 a0, v12
	v_accvgpr_write_b32 a1, v13
	;; [unrolled: 1-line block ×4, first 2 shown]
	s_waitcnt vmcnt(0)
	v_lshlrev_b16_e32 v3, 8, v3
	v_or_b32_sdwa v3, v4, v3 dst_sel:WORD_1 dst_unused:UNUSED_PAD src0_sel:BYTE_0 src1_sel:DWORD
	scratch_load_dword v4, off, off offset:968 ; 4-byte Folded Reload
	v_or_b32_sdwa v86, v2, v3 dst_sel:DWORD dst_unused:UNUSED_PAD src0_sel:WORD_0 src1_sel:DWORD
	scratch_load_dword v3, off, off offset:972 ; 4-byte Folded Reload
	v_lshrrev_b32_e32 v2, 8, v101
	v_lshlrev_b16_e32 v2, 8, v2
	v_or_b32_sdwa v2, v101, v2 dst_sel:DWORD dst_unused:UNUSED_PAD src0_sel:BYTE_0 src1_sel:DWORD
	v_mfma_f32_16x16x32_fp8_fp8 a[0:3], v[88:89], v[86:87], a[0:3]
	s_waitcnt vmcnt(0)
	v_lshlrev_b16_e32 v3, 8, v3
	v_or_b32_sdwa v3, v4, v3 dst_sel:WORD_1 dst_unused:UNUSED_PAD src0_sel:BYTE_0 src1_sel:DWORD
	scratch_load_dword v4, off, off offset:288 ; 4-byte Folded Reload
	v_or_b32_sdwa v21, v2, v3 dst_sel:DWORD dst_unused:UNUSED_PAD src0_sel:WORD_0 src1_sel:DWORD
	scratch_load_dword v3, off, off offset:948 ; 4-byte Folded Reload
	v_lshrrev_b32_e32 v2, 8, v100
	v_lshlrev_b16_e32 v2, 8, v2
	v_or_b32_sdwa v2, v100, v2 dst_sel:DWORD dst_unused:UNUSED_PAD src0_sel:BYTE_0 src1_sel:DWORD
	s_waitcnt vmcnt(0)
	v_lshlrev_b16_e32 v3, 8, v3
	v_or_b32_sdwa v3, v4, v3 dst_sel:WORD_1 dst_unused:UNUSED_PAD src0_sel:BYTE_0 src1_sel:DWORD
	scratch_load_dword v4, off, off offset:284 ; 4-byte Folded Reload
	v_or_b32_sdwa v20, v2, v3 dst_sel:DWORD dst_unused:UNUSED_PAD src0_sel:WORD_0 src1_sel:DWORD
	scratch_load_dword v3, off, off offset:724 ; 4-byte Folded Reload
	v_lshrrev_b32_e32 v2, 8, v91
	v_lshlrev_b16_e32 v2, 8, v2
	v_or_b32_sdwa v2, v91, v2 dst_sel:DWORD dst_unused:UNUSED_PAD src0_sel:BYTE_0 src1_sel:DWORD
	v_mfma_f32_16x16x32_fp8_fp8 a[24:27], v[36:37], v[20:21], a[0:3]
	s_waitcnt vmcnt(0)
	v_lshlrev_b16_e32 v3, 8, v3
	v_or_b32_sdwa v3, v4, v3 dst_sel:WORD_1 dst_unused:UNUSED_PAD src0_sel:BYTE_0 src1_sel:DWORD
	scratch_load_dword v4, off, off offset:280 ; 4-byte Folded Reload
	v_or_b32_sdwa v23, v2, v3 dst_sel:DWORD dst_unused:UNUSED_PAD src0_sel:WORD_0 src1_sel:DWORD
	scratch_load_dword v3, off, off offset:712 ; 4-byte Folded Reload
	v_lshrrev_b32_e32 v2, 8, v90
	v_lshlrev_b16_e32 v2, 8, v2
	v_or_b32_sdwa v2, v90, v2 dst_sel:DWORD dst_unused:UNUSED_PAD src0_sel:BYTE_0 src1_sel:DWORD
	v_accvgpr_write_b32 a0, v6
	v_accvgpr_write_b32 a1, v7
	;; [unrolled: 1-line block ×4, first 2 shown]
	scratch_load_dword v6, off, off offset:152 ; 4-byte Folded Reload
	scratch_load_dword v7, off, off offset:160 ; 4-byte Folded Reload
	s_waitcnt vmcnt(2)
	v_lshlrev_b16_e32 v3, 8, v3
	v_or_b32_sdwa v3, v4, v3 dst_sel:WORD_1 dst_unused:UNUSED_PAD src0_sel:BYTE_0 src1_sel:DWORD
	scratch_load_dword v4, off, off offset:256 ; 4-byte Folded Reload
	v_or_b32_sdwa v22, v2, v3 dst_sel:DWORD dst_unused:UNUSED_PAD src0_sel:WORD_0 src1_sel:DWORD
	scratch_load_dword v3, off, off offset:708 ; 4-byte Folded Reload
	v_lshrrev_b32_e32 v2, 8, v93
	v_lshlrev_b16_e32 v2, 8, v2
	v_or_b32_sdwa v2, v93, v2 dst_sel:DWORD dst_unused:UNUSED_PAD src0_sel:BYTE_0 src1_sel:DWORD
	v_mfma_f32_16x16x32_fp8_fp8 a[0:3], v[88:89], v[22:23], a[0:3]
	s_waitcnt vmcnt(0)
	v_lshlrev_b16_e32 v3, 8, v3
	v_or_b32_sdwa v3, v4, v3 dst_sel:WORD_1 dst_unused:UNUSED_PAD src0_sel:BYTE_0 src1_sel:DWORD
	scratch_load_dword v4, off, off offset:248 ; 4-byte Folded Reload
	v_or_b32_sdwa v25, v2, v3 dst_sel:DWORD dst_unused:UNUSED_PAD src0_sel:WORD_0 src1_sel:DWORD
	scratch_load_dword v3, off, off offset:704 ; 4-byte Folded Reload
	v_lshrrev_b32_e32 v2, 8, v92
	v_lshlrev_b16_e32 v2, 8, v2
	v_or_b32_sdwa v2, v92, v2 dst_sel:DWORD dst_unused:UNUSED_PAD src0_sel:BYTE_0 src1_sel:DWORD
	s_waitcnt vmcnt(0)
	v_lshlrev_b16_e32 v3, 8, v3
	v_or_b32_sdwa v3, v4, v3 dst_sel:WORD_1 dst_unused:UNUSED_PAD src0_sel:BYTE_0 src1_sel:DWORD
	scratch_load_dword v4, off, off offset:276 ; 4-byte Folded Reload
	v_or_b32_sdwa v24, v2, v3 dst_sel:DWORD dst_unused:UNUSED_PAD src0_sel:WORD_0 src1_sel:DWORD
	scratch_load_dword v3, off, off offset:696 ; 4-byte Folded Reload
	v_lshrrev_b32_e32 v2, 8, v95
	v_lshlrev_b16_e32 v2, 8, v2
	v_or_b32_sdwa v2, v95, v2 dst_sel:DWORD dst_unused:UNUSED_PAD src0_sel:BYTE_0 src1_sel:DWORD
	v_mfma_f32_16x16x32_fp8_fp8 a[8:11], v[36:37], v[24:25], a[0:3]
	s_waitcnt vmcnt(0)
	v_lshlrev_b16_e32 v3, 8, v3
	v_or_b32_sdwa v3, v4, v3 dst_sel:WORD_1 dst_unused:UNUSED_PAD src0_sel:BYTE_0 src1_sel:DWORD
	scratch_load_dword v4, off, off offset:268 ; 4-byte Folded Reload
	v_or_b32_sdwa v49, v2, v3 dst_sel:DWORD dst_unused:UNUSED_PAD src0_sel:WORD_0 src1_sel:DWORD
	scratch_load_dword v3, off, off offset:688 ; 4-byte Folded Reload
	v_lshrrev_b32_e32 v2, 8, v94
	v_lshlrev_b16_e32 v2, 8, v2
	v_or_b32_sdwa v2, v94, v2 dst_sel:DWORD dst_unused:UNUSED_PAD src0_sel:BYTE_0 src1_sel:DWORD
	v_accvgpr_write_b32 a0, v16
	v_accvgpr_write_b32 a1, v17
	;; [unrolled: 1-line block ×4, first 2 shown]
	s_waitcnt vmcnt(0)
	v_lshlrev_b16_e32 v3, 8, v3
	v_or_b32_sdwa v3, v4, v3 dst_sel:WORD_1 dst_unused:UNUSED_PAD src0_sel:BYTE_0 src1_sel:DWORD
	scratch_load_dword v4, off, off offset:244 ; 4-byte Folded Reload
	v_or_b32_sdwa v48, v2, v3 dst_sel:DWORD dst_unused:UNUSED_PAD src0_sel:WORD_0 src1_sel:DWORD
	scratch_load_dword v3, off, off offset:684 ; 4-byte Folded Reload
	v_lshrrev_b32_e32 v2, 8, v97
	v_lshlrev_b16_e32 v2, 8, v2
	v_or_b32_sdwa v2, v97, v2 dst_sel:DWORD dst_unused:UNUSED_PAD src0_sel:BYTE_0 src1_sel:DWORD
	v_mfma_f32_16x16x32_fp8_fp8 a[0:3], v[88:89], v[48:49], a[0:3]
	s_waitcnt vmcnt(0)
	v_lshlrev_b16_e32 v3, 8, v3
	v_or_b32_sdwa v3, v4, v3 dst_sel:WORD_1 dst_unused:UNUSED_PAD src0_sel:BYTE_0 src1_sel:DWORD
	scratch_load_dword v4, off, off offset:240 ; 4-byte Folded Reload
	v_or_b32_sdwa v43, v2, v3 dst_sel:DWORD dst_unused:UNUSED_PAD src0_sel:WORD_0 src1_sel:DWORD
	scratch_load_dword v3, off, off offset:428 ; 4-byte Folded Reload
	v_lshrrev_b32_e32 v2, 8, v96
	v_lshlrev_b16_e32 v2, 8, v2
	v_or_b32_sdwa v2, v96, v2 dst_sel:DWORD dst_unused:UNUSED_PAD src0_sel:BYTE_0 src1_sel:DWORD
	s_waitcnt vmcnt(0)
	v_lshlrev_b16_e32 v3, 8, v3
	v_or_b32_sdwa v3, v4, v3 dst_sel:WORD_1 dst_unused:UNUSED_PAD src0_sel:BYTE_0 src1_sel:DWORD
	scratch_load_dword v4, off, off offset:680 ; 4-byte Folded Reload
	v_or_b32_sdwa v42, v2, v3 dst_sel:DWORD dst_unused:UNUSED_PAD src0_sel:WORD_0 src1_sel:DWORD
	scratch_load_dword v3, off, off offset:648 ; 4-byte Folded Reload
	v_lshrrev_b32_e32 v2, 8, v103
	v_lshlrev_b16_e32 v2, 8, v2
	v_or_b32_sdwa v2, v103, v2 dst_sel:DWORD dst_unused:UNUSED_PAD src0_sel:BYTE_0 src1_sel:DWORD
	v_mfma_f32_16x16x32_fp8_fp8 a[12:15], v[36:37], v[42:43], a[0:3]
	s_waitcnt vmcnt(0)
	v_lshlrev_b16_e32 v3, 8, v3
	v_or_b32_sdwa v3, v4, v3 dst_sel:WORD_1 dst_unused:UNUSED_PAD src0_sel:BYTE_0 src1_sel:DWORD
	scratch_load_dword v4, off, off offset:460 ; 4-byte Folded Reload
	v_or_b32_sdwa v9, v2, v3 dst_sel:DWORD dst_unused:UNUSED_PAD src0_sel:WORD_0 src1_sel:DWORD
	scratch_load_dword v3, off, off offset:560 ; 4-byte Folded Reload
	v_lshrrev_b32_e32 v2, 8, v102
	v_lshlrev_b16_e32 v2, 8, v2
	v_or_b32_sdwa v2, v102, v2 dst_sel:DWORD dst_unused:UNUSED_PAD src0_sel:BYTE_0 src1_sel:DWORD
	;; [unrolled: 19-line block ×3, first 2 shown]
	s_waitcnt vmcnt(0)
	v_lshlrev_b16_e32 v3, 8, v3
	v_or_b32_sdwa v3, v4, v3 dst_sel:WORD_1 dst_unused:UNUSED_PAD src0_sel:BYTE_0 src1_sel:DWORD
	scratch_load_dword v4, off, off offset:164 ; 4-byte Folded Reload
	v_or_b32_sdwa v34, v2, v3 dst_sel:DWORD dst_unused:UNUSED_PAD src0_sel:WORD_0 src1_sel:DWORD
	scratch_load_dword v3, off, off offset:192 ; 4-byte Folded Reload
	v_lshrrev_b32_e32 v2, 8, v75
	v_lshlrev_b16_e32 v2, 8, v2
	v_or_b32_sdwa v2, v75, v2 dst_sel:DWORD dst_unused:UNUSED_PAD src0_sel:BYTE_0 src1_sel:DWORD
	v_mfma_f32_16x16x32_fp8_fp8 a[0:3], v[36:37], v[34:35], a[0:3]
	s_waitcnt vmcnt(0)
	v_lshlrev_b16_e32 v3, 8, v3
	v_or_b32_sdwa v3, v4, v3 dst_sel:WORD_1 dst_unused:UNUSED_PAD src0_sel:BYTE_0 src1_sel:DWORD
	scratch_load_dword v4, off, off offset:188 ; 4-byte Folded Reload
	v_or_b32_sdwa v3, v2, v3 dst_sel:DWORD dst_unused:UNUSED_PAD src0_sel:WORD_0 src1_sel:DWORD
	v_lshrrev_b32_e32 v2, 8, v74
	v_lshlrev_b16_e32 v2, 8, v2
	v_or_b32_sdwa v2, v74, v2 dst_sel:DWORD dst_unused:UNUSED_PAD src0_sel:BYTE_0 src1_sel:DWORD
	s_waitcnt vmcnt(0)
	v_lshlrev_b16_e32 v4, 8, v4
	v_or_b32_sdwa v4, v5, v4 dst_sel:WORD_1 dst_unused:UNUSED_PAD src0_sel:BYTE_0 src1_sel:DWORD
	scratch_load_dword v5, off, off offset:184 ; 4-byte Folded Reload
	v_or_b32_sdwa v2, v2, v4 dst_sel:DWORD dst_unused:UNUSED_PAD src0_sel:WORD_0 src1_sel:DWORD
	v_lshrrev_b32_e32 v4, 8, v77
	v_lshlrev_b16_e32 v4, 8, v4
	v_or_b32_sdwa v4, v77, v4 dst_sel:DWORD dst_unused:UNUSED_PAD src0_sel:BYTE_0 src1_sel:DWORD
	v_mfma_f32_16x16x32_fp8_fp8 a[4:7], v[2:3], v[106:107], a[152:155]
	s_waitcnt vmcnt(0)
	v_lshlrev_b16_e32 v5, 8, v5
	v_or_b32_sdwa v5, v6, v5 dst_sel:WORD_1 dst_unused:UNUSED_PAD src0_sel:BYTE_0 src1_sel:DWORD
	scratch_load_dword v6, off, off offset:180 ; 4-byte Folded Reload
	v_or_b32_sdwa v5, v4, v5 dst_sel:DWORD dst_unused:UNUSED_PAD src0_sel:WORD_0 src1_sel:DWORD
	v_lshrrev_b32_e32 v4, 8, v76
	v_lshlrev_b16_e32 v4, 8, v4
	v_or_b32_sdwa v4, v76, v4 dst_sel:DWORD dst_unused:UNUSED_PAD src0_sel:BYTE_0 src1_sel:DWORD
	v_mfma_f32_16x16x32_fp8_fp8 a[88:91], v[2:3], v[8:9], a[88:91]
	s_waitcnt vmcnt(0)
	v_lshlrev_b16_e32 v6, 8, v6
	v_or_b32_sdwa v6, v7, v6 dst_sel:WORD_1 dst_unused:UNUSED_PAD src0_sel:BYTE_0 src1_sel:DWORD
	scratch_load_dword v7, off, off offset:64 ; 4-byte Folded Reload
	v_or_b32_sdwa v4, v4, v6 dst_sel:DWORD dst_unused:UNUSED_PAD src0_sel:WORD_0 src1_sel:DWORD
	scratch_load_dword v6, off, off offset:72 ; 4-byte Folded Reload
	s_nop 0
	v_mfma_f32_16x16x32_fp8_fp8 a[164:167], v[4:5], v[108:109], a[4:7]
	v_mfma_f32_16x16x32_fp8_fp8 a[4:7], v[2:3], v[0:1], a[244:247]
	;; [unrolled: 1-line block ×12, first 2 shown]
	scratch_load_dword v3, off, off offset:144 ; 4-byte Folded Reload
	v_lshrrev_b32_e32 v2, 8, v83
	v_lshlrev_b16_e32 v2, 8, v2
	v_mfma_f32_16x16x32_fp8_fp8 a[4:7], v[4:5], v[42:43], a[4:7]
	v_or_b32_sdwa v2, v83, v2 dst_sel:DWORD dst_unused:UNUSED_PAD src0_sel:BYTE_0 src1_sel:DWORD
	s_waitcnt vmcnt(0)
	v_lshlrev_b16_e32 v3, 8, v3
	v_mfma_f32_16x16x32_fp8_fp8 a[88:91], v[4:5], v[34:35], a[88:91]
	scratch_load_dword v4, off, off offset:92 ; 4-byte Folded Reload
	scratch_load_dword v5, off, off offset:84 ; 4-byte Folded Reload
	s_waitcnt vmcnt(1)
	v_or_b32_sdwa v3, v4, v3 dst_sel:WORD_1 dst_unused:UNUSED_PAD src0_sel:BYTE_0 src1_sel:DWORD
	scratch_load_dword v4, off, off offset:104 ; 4-byte Folded Reload
	v_or_b32_sdwa v3, v2, v3 dst_sel:DWORD dst_unused:UNUSED_PAD src0_sel:WORD_0 src1_sel:DWORD
	v_lshrrev_b32_e32 v2, 8, v82
	v_lshlrev_b16_e32 v2, 8, v2
	v_or_b32_sdwa v2, v82, v2 dst_sel:DWORD dst_unused:UNUSED_PAD src0_sel:BYTE_0 src1_sel:DWORD
	s_waitcnt vmcnt(0)
	v_lshlrev_b16_e32 v4, 8, v4
	v_or_b32_sdwa v4, v5, v4 dst_sel:WORD_1 dst_unused:UNUSED_PAD src0_sel:BYTE_0 src1_sel:DWORD
	scratch_load_dword v5, off, off offset:80 ; 4-byte Folded Reload
	v_or_b32_sdwa v2, v2, v4 dst_sel:DWORD dst_unused:UNUSED_PAD src0_sel:WORD_0 src1_sel:DWORD
	v_lshrrev_b32_e32 v4, 8, v85
	v_lshlrev_b16_e32 v4, 8, v4
	v_or_b32_sdwa v4, v85, v4 dst_sel:DWORD dst_unused:UNUSED_PAD src0_sel:BYTE_0 src1_sel:DWORD
	v_mfma_f32_16x16x32_fp8_fp8 a[108:111], v[2:3], v[106:107], a[116:119]
	s_waitcnt vmcnt(0)
	v_lshlrev_b16_e32 v5, 8, v5
	v_or_b32_sdwa v5, v6, v5 dst_sel:WORD_1 dst_unused:UNUSED_PAD src0_sel:BYTE_0 src1_sel:DWORD
	scratch_load_dword v6, off, off offset:68 ; 4-byte Folded Reload
	v_or_b32_sdwa v5, v4, v5 dst_sel:DWORD dst_unused:UNUSED_PAD src0_sel:WORD_0 src1_sel:DWORD
	v_lshrrev_b32_e32 v4, 8, v84
	v_lshlrev_b16_e32 v4, 8, v4
	v_or_b32_sdwa v4, v84, v4 dst_sel:DWORD dst_unused:UNUSED_PAD src0_sel:BYTE_0 src1_sel:DWORD
	v_mfma_f32_16x16x32_fp8_fp8 a[100:103], v[2:3], v[28:29], a[100:103]
	s_waitcnt vmcnt(0)
	v_lshlrev_b16_e32 v6, 8, v6
	v_or_b32_sdwa v6, v7, v6 dst_sel:WORD_1 dst_unused:UNUSED_PAD src0_sel:BYTE_0 src1_sel:DWORD
	v_mfma_f32_16x16x32_fp8_fp8 a[96:99], v[2:3], v[86:87], a[96:99]
	v_or_b32_sdwa v4, v4, v6 dst_sel:DWORD dst_unused:UNUSED_PAD src0_sel:WORD_0 src1_sel:DWORD
	scratch_load_dword v6, off, off offset:132 ; 4-byte Folded Reload
	scratch_load_dword v7, off, off offset:120 ; 4-byte Folded Reload
	v_mfma_f32_16x16x32_fp8_fp8 a[160:163], v[4:5], v[108:109], a[108:111]
	v_mfma_f32_16x16x32_fp8_fp8 a[108:111], v[2:3], v[0:1], a[128:131]
	;; [unrolled: 1-line block ×7, first 2 shown]
	scratch_load_dword v3, off, off offset:60 ; 4-byte Folded Reload
	v_lshrrev_b32_e32 v2, 8, v79
	v_lshlrev_b16_e32 v2, 8, v2
	v_mfma_f32_16x16x32_fp8_fp8 a[148:151], v[4:5], v[32:33], a[108:111]
	v_or_b32_sdwa v2, v79, v2 dst_sel:DWORD dst_unused:UNUSED_PAD src0_sel:BYTE_0 src1_sel:DWORD
	s_waitcnt vmcnt(0)
	v_lshlrev_b16_e32 v3, 8, v3
	v_mfma_f32_16x16x32_fp8_fp8 a[144:147], v[4:5], v[60:61], a[100:103]
	v_mfma_f32_16x16x32_fp8_fp8 a[140:143], v[4:5], v[20:21], a[96:99]
	v_mfma_f32_16x16x32_fp8_fp8 a[136:139], v[4:5], v[24:25], a[92:95]
	v_mfma_f32_16x16x32_fp8_fp8 a[132:135], v[4:5], v[42:43], a[80:83]
	v_mfma_f32_16x16x32_fp8_fp8 a[128:131], v[4:5], v[34:35], a[68:71]
	scratch_load_dword v4, off, off offset:56 ; 4-byte Folded Reload
	scratch_load_dword v5, off, off offset:48 ; 4-byte Folded Reload
	s_waitcnt vmcnt(1)
	v_or_b32_sdwa v3, v4, v3 dst_sel:WORD_1 dst_unused:UNUSED_PAD src0_sel:BYTE_0 src1_sel:DWORD
	scratch_load_dword v4, off, off offset:52 ; 4-byte Folded Reload
	v_or_b32_sdwa v3, v2, v3 dst_sel:DWORD dst_unused:UNUSED_PAD src0_sel:WORD_0 src1_sel:DWORD
	v_lshrrev_b32_e32 v2, 8, v78
	v_lshlrev_b16_e32 v2, 8, v2
	v_or_b32_sdwa v2, v78, v2 dst_sel:DWORD dst_unused:UNUSED_PAD src0_sel:BYTE_0 src1_sel:DWORD
	s_waitcnt vmcnt(0)
	v_lshlrev_b16_e32 v4, 8, v4
	v_or_b32_sdwa v4, v5, v4 dst_sel:WORD_1 dst_unused:UNUSED_PAD src0_sel:BYTE_0 src1_sel:DWORD
	scratch_load_dword v5, off, off offset:140 ; 4-byte Folded Reload
	v_or_b32_sdwa v2, v2, v4 dst_sel:DWORD dst_unused:UNUSED_PAD src0_sel:WORD_0 src1_sel:DWORD
	v_lshrrev_b32_e32 v4, 8, v81
	v_lshlrev_b16_e32 v4, 8, v4
	v_or_b32_sdwa v4, v81, v4 dst_sel:DWORD dst_unused:UNUSED_PAD src0_sel:BYTE_0 src1_sel:DWORD
	v_mfma_f32_16x16x32_fp8_fp8 a[60:63], v[2:3], v[0:1], a[60:63]
	s_waitcnt vmcnt(0)
	v_lshlrev_b16_e32 v5, 8, v5
	v_or_b32_sdwa v5, v6, v5 dst_sel:WORD_1 dst_unused:UNUSED_PAD src0_sel:BYTE_0 src1_sel:DWORD
	scratch_load_dword v6, off, off offset:128 ; 4-byte Folded Reload
	v_or_b32_sdwa v5, v4, v5 dst_sel:DWORD dst_unused:UNUSED_PAD src0_sel:WORD_0 src1_sel:DWORD
	v_lshrrev_b32_e32 v4, 8, v80
	v_lshlrev_b16_e32 v4, 8, v4
	v_or_b32_sdwa v4, v80, v4 dst_sel:DWORD dst_unused:UNUSED_PAD src0_sel:BYTE_0 src1_sel:DWORD
	v_mfma_f32_16x16x32_fp8_fp8 a[64:67], v[2:3], v[106:107], a[64:67]
	s_waitcnt vmcnt(0)
	v_lshlrev_b16_e32 v6, 8, v6
	v_or_b32_sdwa v6, v7, v6 dst_sel:WORD_1 dst_unused:UNUSED_PAD src0_sel:BYTE_0 src1_sel:DWORD
	scratch_load_dword v7, off, off offset:28 ; 4-byte Folded Reload
	v_or_b32_sdwa v4, v4, v6 dst_sel:DWORD dst_unused:UNUSED_PAD src0_sel:WORD_0 src1_sel:DWORD
	scratch_load_dword v6, off, off offset:32 ; 4-byte Folded Reload
	s_nop 0
	v_mfma_f32_16x16x32_fp8_fp8 a[92:95], v[4:5], v[110:111], a[60:63]
	v_mfma_f32_16x16x32_fp8_fp8 a[60:63], v[2:3], v[10:11], a[104:107]
	;; [unrolled: 1-line block ×12, first 2 shown]
	scratch_load_dword v3, off, off offset:124 ; 4-byte Folded Reload
	v_lshrrev_b32_e32 v2, 8, v67
	v_lshlrev_b16_e32 v2, 8, v2
	v_mfma_f32_16x16x32_fp8_fp8 a[100:103], v[4:5], v[108:109], a[64:67]
	v_or_b32_sdwa v2, v67, v2 dst_sel:DWORD dst_unused:UNUSED_PAD src0_sel:BYTE_0 src1_sel:DWORD
	s_waitcnt vmcnt(0)
	v_lshlrev_b16_e32 v3, 8, v3
	v_mfma_f32_16x16x32_fp8_fp8 a[120:123], v[4:5], v[34:35], a[60:63]
	scratch_load_dword v4, off, off offset:44 ; 4-byte Folded Reload
	scratch_load_dword v5, off, off offset:40 ; 4-byte Folded Reload
	s_waitcnt vmcnt(1)
	v_or_b32_sdwa v3, v4, v3 dst_sel:WORD_1 dst_unused:UNUSED_PAD src0_sel:BYTE_0 src1_sel:DWORD
	scratch_load_dword v4, off, off offset:108 ; 4-byte Folded Reload
	v_or_b32_sdwa v3, v2, v3 dst_sel:DWORD dst_unused:UNUSED_PAD src0_sel:WORD_0 src1_sel:DWORD
	v_lshrrev_b32_e32 v2, 8, v66
	v_lshlrev_b16_e32 v2, 8, v2
	v_or_b32_sdwa v2, v66, v2 dst_sel:DWORD dst_unused:UNUSED_PAD src0_sel:BYTE_0 src1_sel:DWORD
	s_waitcnt vmcnt(0)
	v_lshlrev_b16_e32 v4, 8, v4
	v_or_b32_sdwa v4, v5, v4 dst_sel:WORD_1 dst_unused:UNUSED_PAD src0_sel:BYTE_0 src1_sel:DWORD
	scratch_load_dword v5, off, off offset:116 ; 4-byte Folded Reload
	v_or_b32_sdwa v2, v2, v4 dst_sel:DWORD dst_unused:UNUSED_PAD src0_sel:WORD_0 src1_sel:DWORD
	v_lshrrev_b32_e32 v4, 8, v69
	v_lshlrev_b16_e32 v4, 8, v4
	v_or_b32_sdwa v4, v69, v4 dst_sel:DWORD dst_unused:UNUSED_PAD src0_sel:BYTE_0 src1_sel:DWORD
	v_mfma_f32_16x16x32_fp8_fp8 a[56:59], v[2:3], v[106:107], a[56:59]
	s_waitcnt vmcnt(0)
	v_lshlrev_b16_e32 v5, 8, v5
	v_or_b32_sdwa v5, v6, v5 dst_sel:WORD_1 dst_unused:UNUSED_PAD src0_sel:BYTE_0 src1_sel:DWORD
	scratch_load_dword v6, off, off offset:96 ; 4-byte Folded Reload
	v_or_b32_sdwa v5, v4, v5 dst_sel:DWORD dst_unused:UNUSED_PAD src0_sel:WORD_0 src1_sel:DWORD
	v_lshrrev_b32_e32 v4, 8, v68
	v_lshlrev_b16_e32 v4, 8, v4
	v_or_b32_sdwa v4, v68, v4 dst_sel:DWORD dst_unused:UNUSED_PAD src0_sel:BYTE_0 src1_sel:DWORD
	v_mfma_f32_16x16x32_fp8_fp8 a[40:43], v[2:3], v[48:49], a[40:43]
	s_waitcnt vmcnt(0)
	v_lshlrev_b16_e32 v6, 8, v6
	v_or_b32_sdwa v6, v7, v6 dst_sel:WORD_1 dst_unused:UNUSED_PAD src0_sel:BYTE_0 src1_sel:DWORD
	v_mfma_f32_16x16x32_fp8_fp8 a[52:55], v[2:3], v[28:29], a[52:55]
	v_or_b32_sdwa v4, v4, v6 dst_sel:DWORD dst_unused:UNUSED_PAD src0_sel:WORD_0 src1_sel:DWORD
	scratch_load_dword v6, off, off offset:4 ; 4-byte Folded Reload
	scratch_load_dword v7, off, off         ; 4-byte Folded Reload
	v_mfma_f32_16x16x32_fp8_fp8 a[96:99], v[4:5], v[108:109], a[56:59]
	v_mfma_f32_16x16x32_fp8_fp8 a[56:59], v[2:3], v[0:1], a[84:87]
	;; [unrolled: 1-line block ×8, first 2 shown]
	scratch_load_dword v3, off, off offset:36 ; 4-byte Folded Reload
	v_lshrrev_b32_e32 v2, 8, v63
	v_lshlrev_b16_e32 v2, 8, v2
	v_mfma_f32_16x16x32_fp8_fp8 a[84:87], v[4:5], v[32:33], a[56:59]
	v_or_b32_sdwa v2, v63, v2 dst_sel:DWORD dst_unused:UNUSED_PAD src0_sel:BYTE_0 src1_sel:DWORD
	s_waitcnt vmcnt(0)
	v_lshlrev_b16_e32 v3, 8, v3
	v_mfma_f32_16x16x32_fp8_fp8 a[80:83], v[4:5], v[60:61], a[52:55]
	v_mfma_f32_16x16x32_fp8_fp8 a[76:79], v[4:5], v[20:21], a[48:51]
	;; [unrolled: 1-line block ×4, first 2 shown]
	scratch_load_dword v4, off, off offset:16 ; 4-byte Folded Reload
	scratch_load_dword v5, off, off offset:8 ; 4-byte Folded Reload
	s_waitcnt vmcnt(1)
	v_or_b32_sdwa v3, v4, v3 dst_sel:WORD_1 dst_unused:UNUSED_PAD src0_sel:BYTE_0 src1_sel:DWORD
	scratch_load_dword v4, off, off offset:24 ; 4-byte Folded Reload
	v_or_b32_sdwa v3, v2, v3 dst_sel:DWORD dst_unused:UNUSED_PAD src0_sel:WORD_0 src1_sel:DWORD
	v_lshrrev_b32_e32 v2, 8, v62
	v_lshlrev_b16_e32 v2, 8, v2
	v_or_b32_sdwa v2, v62, v2 dst_sel:DWORD dst_unused:UNUSED_PAD src0_sel:BYTE_0 src1_sel:DWORD
	s_waitcnt vmcnt(0)
	v_lshlrev_b16_e32 v4, 8, v4
	v_or_b32_sdwa v4, v5, v4 dst_sel:WORD_1 dst_unused:UNUSED_PAD src0_sel:BYTE_0 src1_sel:DWORD
	scratch_load_dword v5, off, off offset:20 ; 4-byte Folded Reload
	v_or_b32_sdwa v2, v2, v4 dst_sel:DWORD dst_unused:UNUSED_PAD src0_sel:WORD_0 src1_sel:DWORD
	v_lshrrev_b32_e32 v4, 8, v65
	v_lshlrev_b16_e32 v4, 8, v4
	v_or_b32_sdwa v4, v65, v4 dst_sel:DWORD dst_unused:UNUSED_PAD src0_sel:BYTE_0 src1_sel:DWORD
	v_mfma_f32_16x16x32_fp8_fp8 a[40:43], v[2:3], v[106:107], a[240:243]
	s_waitcnt vmcnt(0)
	v_lshlrev_b16_e32 v5, 8, v5
	v_or_b32_sdwa v5, v6, v5 dst_sel:WORD_1 dst_unused:UNUSED_PAD src0_sel:BYTE_0 src1_sel:DWORD
	scratch_load_dword v6, off, off offset:12 ; 4-byte Folded Reload
	v_or_b32_sdwa v5, v4, v5 dst_sel:DWORD dst_unused:UNUSED_PAD src0_sel:WORD_0 src1_sel:DWORD
	v_lshrrev_b32_e32 v4, 8, v64
	v_lshlrev_b16_e32 v4, 8, v4
	v_or_b32_sdwa v4, v64, v4 dst_sel:DWORD dst_unused:UNUSED_PAD src0_sel:BYTE_0 src1_sel:DWORD
	v_mfma_f32_16x16x32_fp8_fp8 a[36:39], v[2:3], v[28:29], a[36:39]
	s_waitcnt vmcnt(0)
	v_lshlrev_b16_e32 v6, 8, v6
	v_or_b32_sdwa v6, v7, v6 dst_sel:WORD_1 dst_unused:UNUSED_PAD src0_sel:BYTE_0 src1_sel:DWORD
	scratch_load_dword v7, off, off offset:76 ; 4-byte Folded Reload
	v_or_b32_sdwa v4, v4, v6 dst_sel:DWORD dst_unused:UNUSED_PAD src0_sel:WORD_0 src1_sel:DWORD
	scratch_load_dword v6, off, off offset:100 ; 4-byte Folded Reload
	s_nop 0
	v_mfma_f32_16x16x32_fp8_fp8 a[228:231], v[4:5], v[108:109], a[40:43]
	v_mfma_f32_16x16x32_fp8_fp8 a[40:43], v[2:3], v[0:1], a[232:235]
	;; [unrolled: 1-line block ×13, first 2 shown]
	scratch_load_dword v3, off, off offset:172 ; 4-byte Folded Reload
	v_lshrrev_b32_e32 v2, 8, v71
	v_lshlrev_b16_e32 v2, 8, v2
	v_mfma_f32_16x16x32_fp8_fp8 a[60:63], v[4:5], v[34:35], a[36:39]
	scratch_load_dword v4, off, off offset:148 ; 4-byte Folded Reload
	scratch_load_dword v5, off, off offset:136 ; 4-byte Folded Reload
	v_or_b32_sdwa v2, v71, v2 dst_sel:DWORD dst_unused:UNUSED_PAD src0_sel:BYTE_0 src1_sel:DWORD
	s_waitcnt vmcnt(2)
	v_lshlrev_b16_e32 v3, 8, v3
	s_waitcnt vmcnt(1)
	v_or_b32_sdwa v3, v4, v3 dst_sel:WORD_1 dst_unused:UNUSED_PAD src0_sel:BYTE_0 src1_sel:DWORD
	scratch_load_dword v4, off, off offset:176 ; 4-byte Folded Reload
	v_or_b32_sdwa v3, v2, v3 dst_sel:DWORD dst_unused:UNUSED_PAD src0_sel:WORD_0 src1_sel:DWORD
	v_lshrrev_b32_e32 v2, 8, v70
	v_lshlrev_b16_e32 v2, 8, v2
	v_or_b32_sdwa v2, v70, v2 dst_sel:DWORD dst_unused:UNUSED_PAD src0_sel:BYTE_0 src1_sel:DWORD
	s_waitcnt vmcnt(0)
	v_lshlrev_b16_e32 v4, 8, v4
	v_or_b32_sdwa v4, v5, v4 dst_sel:WORD_1 dst_unused:UNUSED_PAD src0_sel:BYTE_0 src1_sel:DWORD
	scratch_load_dword v5, off, off offset:112 ; 4-byte Folded Reload
	v_or_b32_sdwa v2, v2, v4 dst_sel:DWORD dst_unused:UNUSED_PAD src0_sel:WORD_0 src1_sel:DWORD
	v_lshrrev_b32_e32 v4, 8, v73
	v_lshlrev_b16_e32 v4, 8, v4
	v_mfma_f32_16x16x32_fp8_fp8 a[36:39], v[2:3], v[106:107], a[248:251]
	v_or_b32_sdwa v4, v73, v4 dst_sel:DWORD dst_unused:UNUSED_PAD src0_sel:BYTE_0 src1_sel:DWORD
	s_waitcnt vmcnt(0)
	v_lshlrev_b16_e32 v5, 8, v5
	v_or_b32_sdwa v5, v6, v5 dst_sel:WORD_1 dst_unused:UNUSED_PAD src0_sel:BYTE_0 src1_sel:DWORD
	scratch_load_dword v6, off, off offset:88 ; 4-byte Folded Reload
	v_mfma_f32_16x16x32_fp8_fp8 a[208:211], v[2:3], v[0:1], a[252:255]
	v_or_b32_sdwa v5, v4, v5 dst_sel:DWORD dst_unused:UNUSED_PAD src0_sel:WORD_0 src1_sel:DWORD
	v_lshrrev_b32_e32 v4, 8, v72
	v_lshlrev_b16_e32 v4, 8, v4
	v_mfma_f32_16x16x32_fp8_fp8 a[200:203], v[2:3], v[10:11], a[200:203]
	v_or_b32_sdwa v4, v72, v4 dst_sel:DWORD dst_unused:UNUSED_PAD src0_sel:BYTE_0 src1_sel:DWORD
	s_waitcnt vmcnt(0)
	v_lshlrev_b16_e32 v6, 8, v6
	v_mfma_f32_16x16x32_fp8_fp8 a[192:195], v[2:3], v[28:29], a[192:195]
	v_or_b32_sdwa v6, v7, v6 dst_sel:WORD_1 dst_unused:UNUSED_PAD src0_sel:BYTE_0 src1_sel:DWORD
	scratch_load_dword v7, off, off offset:1140 ; 4-byte Folded Reload
	v_or_b32_sdwa v4, v4, v6 dst_sel:DWORD dst_unused:UNUSED_PAD src0_sel:WORD_0 src1_sel:DWORD
	v_mfma_f32_16x16x32_fp8_fp8 a[188:191], v[2:3], v[86:87], a[188:191]
	v_mfma_f32_16x16x32_fp8_fp8 a[184:187], v[2:3], v[22:23], a[184:187]
	;; [unrolled: 1-line block ×4, first 2 shown]
	scratch_load_dword v2, off, off offset:1136 ; 4-byte Folded Reload
	scratch_load_dword v3, off, off offset:1144 ; 4-byte Folded Reload
	s_waitcnt lgkmcnt(0)
	v_mfma_f32_16x16x32_fp8_fp8 a[36:39], v[4:5], v[108:109], a[36:39]
	s_barrier
	s_waitcnt vmcnt(1)
	v_lshlrev_b32_e32 v0, 3, v2
	v_lshl_or_b32 v2, v2, 4, v2
	v_mfma_f32_16x16x32_fp8_fp8 a[208:211], v[4:5], v[110:111], a[208:211]
	v_and_b32_e32 v1, 0x400, v0
	v_and_b32_e32 v2, 0x30f, v2
	s_waitcnt vmcnt(0)
	v_or3_b32 v3, v2, v1, v3
	v_mfma_f32_16x16x32_fp8_fp8 a[200:203], v[4:5], v[32:33], a[200:203]
	v_mfma_f32_16x16x32_fp8_fp8 a[192:195], v[4:5], v[60:61], a[192:195]
	;; [unrolled: 1-line block ×6, first 2 shown]
	v_and_b32_e32 v5, 56, v0
	v_or_b32_e32 v2, s13, v5
	v_or_b32_e32 v4, s12, v7
	v_mad_u64_u32 v[0:1], s[2:3], v4, s25, v[2:3]
	v_accvgpr_read_b32 v1, a28
	v_cvt_f16_f32_e32 v6, v1
	v_lshlrev_b32_e32 v1, 1, v3
	v_accvgpr_read_b32 v3, a29
	v_cvt_f16_f32_e32 v3, v3
	ds_write_b16 v1, v6
	v_cmp_gt_i32_e32 vcc, s21, v2
	v_cmp_gt_i32_e64 s[14:15], s20, v4
	ds_write_b16 v1, v3 offset:128
	v_accvgpr_read_b32 v3, a30
	v_cvt_f16_f32_e32 v3, v3
	s_and_b64 s[2:3], s[14:15], vcc
	v_lshlrev_b32_e32 v10, 1, v0
	v_add_u32_e32 v12, 0xc0, v0
	ds_write_b16 v1, v3 offset:256
	v_accvgpr_read_b32 v3, a31
	v_cvt_f16_f32_e32 v3, v3
	v_add_lshl_u32 v16, v12, s18, 1
	v_add_u32_e32 v0, s18, v0
	v_lshlrev_b32_e32 v18, 1, v0
	ds_write_b16 v1, v3 offset:384
	v_accvgpr_read_b32 v3, a19
	v_cvt_f16_f32_e32 v3, v3
	v_add_u32_e32 v28, s18, v0
	v_accvgpr_read_b32 v0, a160
	v_cvt_f16_f32_e32 v0, v0
	ds_write_b16 v1, v3 offset:448
	v_accvgpr_read_b32 v3, a18
	v_cvt_f16_f32_e32 v3, v3
	v_lshlrev_b32_e32 v26, 1, v28
	v_add_u32_e32 v29, 0xc0, v28
	ds_write_b16 v1, v3 offset:320
	v_accvgpr_read_b32 v3, a17
	v_cvt_f16_f32_e32 v3, v3
	ds_write_b16 v1, v3 offset:192
	v_accvgpr_read_b32 v3, a16
	v_cvt_f16_f32_e32 v3, v3
	ds_write_b16 v1, v3 offset:64
	v_lshlrev_b32_e32 v3, 1, v5
	v_lshl_or_b32 v3, v7, 7, v3
	s_waitcnt lgkmcnt(0)
	s_barrier
	ds_read2_b64 v[6:9], v3 offset1:1
	v_bfrev_b32_e32 v5, 1
	v_cndmask_b32_e64 v11, v5, 0, s[2:3]
	v_add_u32_e32 v11, v11, v10
	s_waitcnt lgkmcnt(0)
	buffer_store_dwordx2 v[6:7], v11, s[28:31], 0 offen
	v_or_b32_e32 v6, 4, v2
	v_cmp_gt_i32_e64 s[0:1], s21, v6
	s_and_b64 s[2:3], s[14:15], s[0:1]
	v_cndmask_b32_e64 v6, v5, 0, s[2:3]
	v_add_u32_e32 v6, v10, v6
	buffer_store_dwordx2 v[8:9], v6, s[28:31], 0 offen offset:8
	v_accvgpr_read_b32 v6, a32
	v_cvt_f16_f32_e32 v6, v6
	s_waitcnt lgkmcnt(0)
	s_barrier
	v_or_b32_e32 v11, 64, v2
	ds_write_b16 v1, v6
	v_accvgpr_read_b32 v6, a33
	v_cvt_f16_f32_e32 v6, v6
	v_cmp_gt_i32_e64 s[2:3], s21, v11
	s_and_b64 s[4:5], s[14:15], s[2:3]
	v_cndmask_b32_e64 v11, v5, 0, s[4:5]
	ds_write_b16 v1, v6 offset:128
	v_accvgpr_read_b32 v6, a34
	v_cvt_f16_f32_e32 v6, v6
	v_add_u32_e32 v11, v10, v11
	ds_write_b16 v1, v6 offset:256
	v_accvgpr_read_b32 v6, a35
	v_cvt_f16_f32_e32 v6, v6
	ds_write_b16 v1, v6 offset:384
	v_accvgpr_read_b32 v6, a23
	v_cvt_f16_f32_e32 v6, v6
	;; [unrolled: 3-line block ×5, first 2 shown]
	ds_write_b16 v1, v6 offset:64
	s_waitcnt lgkmcnt(0)
	s_barrier
	ds_read2_b64 v[6:9], v3 offset1:1
	s_waitcnt lgkmcnt(0)
	buffer_store_dwordx2 v[6:7], v11, s[28:31], 0 offen offset:128
	v_or_b32_e32 v6, 0x44, v2
	v_cmp_gt_i32_e64 s[4:5], s21, v6
	s_and_b64 s[6:7], s[14:15], s[4:5]
	v_cndmask_b32_e64 v6, v5, 0, s[6:7]
	v_add_u32_e32 v6, v10, v6
	buffer_store_dwordx2 v[8:9], v6, s[28:31], 0 offen offset:136
	v_accvgpr_read_b32 v6, a24
	v_cvt_f16_f32_e32 v6, v6
	s_waitcnt lgkmcnt(0)
	s_barrier
	v_or_b32_e32 v11, 0x80, v2
	ds_write_b16 v1, v6
	v_accvgpr_read_b32 v6, a25
	v_cvt_f16_f32_e32 v6, v6
	v_cmp_gt_i32_e64 s[6:7], s21, v11
	s_and_b64 s[8:9], s[14:15], s[6:7]
	v_cndmask_b32_e64 v11, v5, 0, s[8:9]
	ds_write_b16 v1, v6 offset:128
	v_accvgpr_read_b32 v6, a26
	v_cvt_f16_f32_e32 v6, v6
	v_add_u32_e32 v11, v10, v11
	ds_write_b16 v1, v6 offset:256
	v_accvgpr_read_b32 v6, a27
	v_cvt_f16_f32_e32 v6, v6
	ds_write_b16 v1, v6 offset:384
	v_accvgpr_read_b32 v6, a11
	v_cvt_f16_f32_e32 v6, v6
	;; [unrolled: 3-line block ×5, first 2 shown]
	ds_write_b16 v1, v6 offset:64
	s_waitcnt lgkmcnt(0)
	s_barrier
	ds_read2_b64 v[6:9], v3 offset1:1
	s_waitcnt lgkmcnt(0)
	buffer_store_dwordx2 v[6:7], v11, s[28:31], 0 offen offset:256
	v_or_b32_e32 v6, 0x84, v2
	v_cmp_gt_i32_e64 s[8:9], s21, v6
	s_and_b64 s[10:11], s[14:15], s[8:9]
	v_cndmask_b32_e64 v6, v5, 0, s[10:11]
	v_add_u32_e32 v6, v10, v6
	buffer_store_dwordx2 v[8:9], v6, s[28:31], 0 offen offset:264
	v_accvgpr_read_b32 v6, a12
	v_cvt_f16_f32_e32 v6, v6
	s_waitcnt lgkmcnt(0)
	s_barrier
	v_or_b32_e32 v11, 0xc0, v2
	ds_write_b16 v1, v6
	v_accvgpr_read_b32 v6, a13
	v_cvt_f16_f32_e32 v6, v6
	v_cmp_gt_i32_e64 s[12:13], s21, v11
	s_and_b64 s[10:11], s[14:15], s[12:13]
	v_cndmask_b32_e64 v11, v5, 0, s[10:11]
	ds_write_b16 v1, v6 offset:128
	v_accvgpr_read_b32 v6, a14
	v_cvt_f16_f32_e32 v6, v6
	v_lshl_add_u32 v11, v12, 1, v11
	v_or_b32_e32 v2, 0xc4, v2
	v_cmp_gt_i32_e64 s[10:11], s21, v2
	ds_write_b16 v1, v6 offset:256
	v_accvgpr_read_b32 v6, a15
	v_cvt_f16_f32_e32 v6, v6
	s_and_b64 s[14:15], s[14:15], s[10:11]
	v_cndmask_b32_e64 v2, v5, 0, s[14:15]
	v_add_u32_e32 v2, v10, v2
	ds_write_b16 v1, v6 offset:384
	v_accvgpr_read_b32 v6, a3
	v_cvt_f16_f32_e32 v6, v6
	ds_write_b16 v1, v6 offset:448
	v_accvgpr_read_b32 v6, a2
	v_cvt_f16_f32_e32 v6, v6
	;; [unrolled: 3-line block ×4, first 2 shown]
	ds_write_b16 v1, v6 offset:64
	s_waitcnt lgkmcnt(0)
	s_barrier
	ds_read2_b64 v[6:9], v3 offset1:1
	s_waitcnt lgkmcnt(0)
	buffer_store_dwordx2 v[6:7], v11, s[28:31], 0 offen
	v_accvgpr_read_b32 v6, a4
	v_cvt_f16_f32_e32 v6, v6
	buffer_store_dwordx2 v[8:9], v2, s[28:31], 0 offen offset:392
	s_waitcnt lgkmcnt(0)
	s_barrier
	ds_write_b16 v1, v6
	v_accvgpr_read_b32 v6, a5
	v_cvt_f16_f32_e32 v6, v6
	v_add_u32_e32 v2, 32, v4
	v_cmp_gt_i32_e64 s[14:15], s20, v2
	s_and_b64 s[16:17], s[14:15], s[12:13]
	ds_write_b16 v1, v6 offset:128
	v_accvgpr_read_b32 v6, a6
	v_cvt_f16_f32_e32 v6, v6
	v_cndmask_b32_e64 v2, v5, 0, s[16:17]
	v_add_u32_e32 v2, v16, v2
	s_and_b64 s[16:17], s[14:15], s[10:11]
	ds_write_b16 v1, v6 offset:256
	v_accvgpr_read_b32 v6, a7
	v_cvt_f16_f32_e32 v6, v6
	ds_write_b16 v1, v6 offset:384
	v_accvgpr_read_b32 v6, a91
	v_cvt_f16_f32_e32 v6, v6
	ds_write_b16 v1, v6 offset:448
	v_accvgpr_read_b32 v6, a90
	v_cvt_f16_f32_e32 v6, v6
	ds_write_b16 v1, v6 offset:320
	v_accvgpr_read_b32 v6, a89
	v_cvt_f16_f32_e32 v6, v6
	ds_write_b16 v1, v6 offset:192
	v_accvgpr_read_b32 v6, a88
	v_cvt_f16_f32_e32 v6, v6
	ds_write_b16 v1, v6 offset:64
	s_waitcnt lgkmcnt(0)
	s_barrier
	ds_read2_b64 v[6:9], v3 offset1:1
	s_waitcnt lgkmcnt(0)
	buffer_store_dwordx2 v[6:7], v2, s[28:31], 0 offen
	v_mov_b32_e32 v2, 0x80000008
	v_cndmask_b32_e64 v6, v2, 8, s[16:17]
	v_add_u32_e32 v6, v16, v6
	buffer_store_dwordx2 v[8:9], v6, s[28:31], 0 offen
	v_accvgpr_read_b32 v6, a244
	v_cvt_f16_f32_e32 v6, v6
	s_waitcnt lgkmcnt(0)
	s_barrier
	s_and_b64 s[16:17], s[14:15], s[6:7]
	ds_write_b16 v1, v6
	v_accvgpr_read_b32 v6, a245
	v_cvt_f16_f32_e32 v6, v6
	v_mov_b32_e32 v7, 0xffffff80
	ds_write_b16 v1, v6 offset:128
	v_accvgpr_read_b32 v6, a246
	v_cvt_f16_f32_e32 v6, v6
	ds_write_b16 v1, v6 offset:256
	v_accvgpr_read_b32 v6, a247
	v_cvt_f16_f32_e32 v6, v6
	;; [unrolled: 3-line block ×6, first 2 shown]
	ds_write_b16 v1, v6 offset:64
	s_waitcnt lgkmcnt(0)
	s_barrier
	ds_read2_b64 v[8:11], v3 offset1:1
	v_mov_b32_e32 v6, 0x7fffff80
	v_cndmask_b32_e64 v12, v6, v7, s[16:17]
	v_add_u32_e32 v12, v16, v12
	s_and_b64 s[16:17], s[14:15], s[8:9]
	s_waitcnt lgkmcnt(0)
	buffer_store_dwordx2 v[8:9], v12, s[28:31], 0 offen
	v_mov_b32_e32 v8, 0x7fffff88
	v_mov_b32_e32 v9, 0xffffff88
	v_cndmask_b32_e64 v12, v8, v9, s[16:17]
	v_add_u32_e32 v12, v16, v12
	buffer_store_dwordx2 v[10:11], v12, s[28:31], 0 offen
	v_accvgpr_read_b32 v10, a196
	v_cvt_f16_f32_e32 v10, v10
	s_waitcnt lgkmcnt(0)
	s_barrier
	s_and_b64 s[16:17], s[14:15], s[2:3]
	ds_write_b16 v1, v10
	v_accvgpr_read_b32 v10, a197
	v_cvt_f16_f32_e32 v10, v10
	v_mov_b32_e32 v11, 0xffffff00
	ds_write_b16 v1, v10 offset:128
	v_accvgpr_read_b32 v10, a198
	v_cvt_f16_f32_e32 v10, v10
	ds_write_b16 v1, v10 offset:256
	v_accvgpr_read_b32 v10, a199
	v_cvt_f16_f32_e32 v10, v10
	;; [unrolled: 3-line block ×6, first 2 shown]
	ds_write_b16 v1, v10 offset:64
	s_waitcnt lgkmcnt(0)
	s_barrier
	ds_read2_b64 v[12:15], v3 offset1:1
	v_mov_b32_e32 v10, 0x7fffff00
	v_cndmask_b32_e64 v17, v10, v11, s[16:17]
	v_add_u32_e32 v17, v16, v17
	s_and_b64 s[16:17], s[14:15], s[4:5]
	s_waitcnt lgkmcnt(0)
	buffer_store_dwordx2 v[12:13], v17, s[28:31], 0 offen
	v_mov_b32_e32 v12, 0x7fffff08
	v_mov_b32_e32 v13, 0xffffff08
	v_cndmask_b32_e64 v17, v12, v13, s[16:17]
	v_add_u32_e32 v16, v16, v17
	buffer_store_dwordx2 v[14:15], v16, s[28:31], 0 offen
	v_accvgpr_read_b32 v14, a164
	v_cvt_f16_f32_e32 v14, v14
	s_waitcnt lgkmcnt(0)
	s_barrier
	s_and_b64 s[16:17], vcc, s[14:15]
	ds_write_b16 v1, v14
	v_accvgpr_read_b32 v14, a165
	v_cvt_f16_f32_e32 v14, v14
	v_cndmask_b32_e64 v19, v5, 0, s[16:17]
	v_add_u32_e32 v19, v19, v18
	s_and_b64 s[14:15], s[14:15], s[0:1]
	ds_write_b16 v1, v14 offset:128
	v_accvgpr_read_b32 v14, a166
	v_cvt_f16_f32_e32 v14, v14
	ds_write_b16 v1, v14 offset:256
	v_accvgpr_read_b32 v14, a167
	v_cvt_f16_f32_e32 v14, v14
	;; [unrolled: 3-line block ×6, first 2 shown]
	ds_write_b16 v1, v14 offset:64
	s_waitcnt lgkmcnt(0)
	s_barrier
	ds_read2_b64 v[14:17], v3 offset1:1
	s_waitcnt lgkmcnt(0)
	buffer_store_dwordx2 v[14:15], v19, s[28:31], 0 offen
	v_cndmask_b32_e64 v14, v5, 0, s[14:15]
	v_add_u32_e32 v14, v18, v14
	buffer_store_dwordx2 v[16:17], v14, s[28:31], 0 offen offset:8
	s_waitcnt lgkmcnt(0)
	s_barrier
	ds_write_b16 v1, v0
	v_accvgpr_read_b32 v0, a161
	v_cvt_f16_f32_e32 v0, v0
	v_add_u32_e32 v18, 64, v4
	v_cmp_gt_i32_e64 s[14:15], s20, v18
	s_and_b64 s[16:17], vcc, s[14:15]
	ds_write_b16 v1, v0 offset:128
	v_accvgpr_read_b32 v0, a162
	v_cvt_f16_f32_e32 v0, v0
	ds_write_b16 v1, v0 offset:256
	v_accvgpr_read_b32 v0, a163
	v_cvt_f16_f32_e32 v0, v0
	ds_write_b16 v1, v0 offset:384
	v_accvgpr_read_b32 v0, a155
	v_cvt_f16_f32_e32 v0, v0
	ds_write_b16 v1, v0 offset:448
	v_accvgpr_read_b32 v0, a154
	v_cvt_f16_f32_e32 v0, v0
	ds_write_b16 v1, v0 offset:320
	v_accvgpr_read_b32 v0, a153
	v_cvt_f16_f32_e32 v0, v0
	ds_write_b16 v1, v0 offset:192
	v_accvgpr_read_b32 v0, a152
	v_cvt_f16_f32_e32 v0, v0
	ds_write_b16 v1, v0 offset:64
	s_waitcnt lgkmcnt(0)
	s_barrier
	ds_read2_b64 v[14:17], v3 offset1:1
	v_cndmask_b32_e64 v0, v5, 0, s[16:17]
	v_add_u32_e32 v0, v26, v0
	s_and_b64 s[16:17], s[14:15], s[0:1]
	s_waitcnt lgkmcnt(0)
	buffer_store_dwordx2 v[14:15], v0, s[28:31], 0 offen
	v_cndmask_b32_e64 v0, v2, 8, s[16:17]
	v_add_u32_e32 v0, v26, v0
	buffer_store_dwordx2 v[16:17], v0, s[28:31], 0 offen
	v_accvgpr_read_b32 v0, a148
	v_cvt_f16_f32_e32 v0, v0
	s_waitcnt lgkmcnt(0)
	s_barrier
	s_and_b64 s[16:17], s[14:15], s[2:3]
	ds_write_b16 v1, v0
	v_accvgpr_read_b32 v0, a149
	v_cvt_f16_f32_e32 v0, v0
	v_mov_b32_e32 v14, 0x80
	ds_write_b16 v1, v0 offset:128
	v_accvgpr_read_b32 v0, a150
	v_cvt_f16_f32_e32 v0, v0
	ds_write_b16 v1, v0 offset:256
	v_accvgpr_read_b32 v0, a151
	v_cvt_f16_f32_e32 v0, v0
	;; [unrolled: 3-line block ×6, first 2 shown]
	ds_write_b16 v1, v0 offset:64
	s_waitcnt lgkmcnt(0)
	s_barrier
	ds_read2_b64 v[16:19], v3 offset1:1
	v_mov_b32_e32 v0, 0x80000080
	v_cndmask_b32_e64 v15, v0, v14, s[16:17]
	v_add_u32_e32 v15, v26, v15
	s_and_b64 s[16:17], s[14:15], s[4:5]
	s_waitcnt lgkmcnt(0)
	buffer_store_dwordx2 v[16:17], v15, s[28:31], 0 offen
	v_mov_b32_e32 v15, 0x80000088
	v_mov_b32_e32 v16, 0x88
	v_cndmask_b32_e64 v17, v15, v16, s[16:17]
	v_add_u32_e32 v17, v26, v17
	buffer_store_dwordx2 v[18:19], v17, s[28:31], 0 offen
	v_accvgpr_read_b32 v17, a140
	v_cvt_f16_f32_e32 v17, v17
	s_waitcnt lgkmcnt(0)
	s_barrier
	s_and_b64 s[16:17], s[14:15], s[6:7]
	ds_write_b16 v1, v17
	v_accvgpr_read_b32 v17, a141
	v_cvt_f16_f32_e32 v17, v17
	v_mov_b32_e32 v18, 0x100
	ds_write_b16 v1, v17 offset:128
	v_accvgpr_read_b32 v17, a142
	v_cvt_f16_f32_e32 v17, v17
	ds_write_b16 v1, v17 offset:256
	v_accvgpr_read_b32 v17, a143
	v_cvt_f16_f32_e32 v17, v17
	;; [unrolled: 3-line block ×6, first 2 shown]
	ds_write_b16 v1, v17 offset:64
	s_waitcnt lgkmcnt(0)
	s_barrier
	ds_read2_b64 v[20:23], v3 offset1:1
	v_mov_b32_e32 v17, 0x80000100
	v_cndmask_b32_e64 v19, v17, v18, s[16:17]
	v_add_u32_e32 v19, v26, v19
	s_and_b64 s[16:17], s[14:15], s[8:9]
	s_waitcnt lgkmcnt(0)
	buffer_store_dwordx2 v[20:21], v19, s[28:31], 0 offen
	v_mov_b32_e32 v19, 0x80000108
	v_mov_b32_e32 v20, 0x108
	v_cndmask_b32_e64 v21, v19, v20, s[16:17]
	v_add_u32_e32 v21, v26, v21
	buffer_store_dwordx2 v[22:23], v21, s[28:31], 0 offen
	v_accvgpr_read_b32 v21, a132
	v_cvt_f16_f32_e32 v21, v21
	s_waitcnt lgkmcnt(0)
	s_barrier
	s_and_b64 s[16:17], s[14:15], s[12:13]
	ds_write_b16 v1, v21
	v_accvgpr_read_b32 v21, a133
	v_cvt_f16_f32_e32 v21, v21
	s_and_b64 s[14:15], s[14:15], s[10:11]
	ds_write_b16 v1, v21 offset:128
	v_accvgpr_read_b32 v21, a134
	v_cvt_f16_f32_e32 v21, v21
	ds_write_b16 v1, v21 offset:256
	v_accvgpr_read_b32 v21, a135
	v_cvt_f16_f32_e32 v21, v21
	;; [unrolled: 3-line block ×6, first 2 shown]
	ds_write_b16 v1, v21 offset:64
	s_waitcnt lgkmcnt(0)
	s_barrier
	ds_read2_b64 v[22:25], v3 offset1:1
	v_cndmask_b32_e64 v21, v5, 0, s[16:17]
	v_lshl_add_u32 v21, v29, 1, v21
	s_waitcnt lgkmcnt(0)
	buffer_store_dwordx2 v[22:23], v21, s[28:31], 0 offen
	v_mov_b32_e32 v21, 0x80000188
	v_mov_b32_e32 v22, 0x188
	v_cndmask_b32_e64 v23, v21, v22, s[14:15]
	v_add_u32_e32 v23, v26, v23
	buffer_store_dwordx2 v[24:25], v23, s[28:31], 0 offen
	v_accvgpr_read_b32 v24, a124
	v_cvt_f16_f32_e32 v24, v24
	s_waitcnt lgkmcnt(0)
	s_barrier
	v_add_u32_e32 v23, 0x60, v4
	ds_write_b16 v1, v24
	v_accvgpr_read_b32 v24, a125
	v_cvt_f16_f32_e32 v24, v24
	v_cmp_gt_i32_e64 s[14:15], s20, v23
	s_and_b64 s[16:17], s[14:15], s[12:13]
	v_add_lshl_u32 v23, v29, s18, 1
	ds_write_b16 v1, v24 offset:128
	v_accvgpr_read_b32 v24, a126
	v_cvt_f16_f32_e32 v24, v24
	v_cndmask_b32_e64 v29, v5, 0, s[16:17]
	v_add_u32_e32 v29, v23, v29
	s_and_b64 s[16:17], s[14:15], s[10:11]
	ds_write_b16 v1, v24 offset:256
	v_accvgpr_read_b32 v24, a127
	v_cvt_f16_f32_e32 v24, v24
	ds_write_b16 v1, v24 offset:384
	v_accvgpr_read_b32 v24, a123
	v_cvt_f16_f32_e32 v24, v24
	;; [unrolled: 3-line block ×5, first 2 shown]
	ds_write_b16 v1, v24 offset:64
	s_waitcnt lgkmcnt(0)
	s_barrier
	ds_read2_b64 v[24:27], v3 offset1:1
	s_waitcnt lgkmcnt(0)
	buffer_store_dwordx2 v[24:25], v29, s[28:31], 0 offen
	v_cndmask_b32_e64 v24, v2, 8, s[16:17]
	v_add_u32_e32 v24, v23, v24
	buffer_store_dwordx2 v[26:27], v24, s[28:31], 0 offen
	v_accvgpr_read_b32 v24, a116
	v_cvt_f16_f32_e32 v24, v24
	s_waitcnt lgkmcnt(0)
	s_barrier
	s_and_b64 s[16:17], s[14:15], s[6:7]
	ds_write_b16 v1, v24
	v_accvgpr_read_b32 v24, a117
	v_cvt_f16_f32_e32 v24, v24
	v_cndmask_b32_e64 v29, v6, v7, s[16:17]
	v_add_u32_e32 v29, v23, v29
	s_and_b64 s[16:17], s[14:15], s[8:9]
	ds_write_b16 v1, v24 offset:128
	v_accvgpr_read_b32 v24, a118
	v_cvt_f16_f32_e32 v24, v24
	ds_write_b16 v1, v24 offset:256
	v_accvgpr_read_b32 v24, a119
	v_cvt_f16_f32_e32 v24, v24
	;; [unrolled: 3-line block ×6, first 2 shown]
	ds_write_b16 v1, v24 offset:64
	s_waitcnt lgkmcnt(0)
	s_barrier
	ds_read2_b64 v[24:27], v3 offset1:1
	s_waitcnt lgkmcnt(0)
	buffer_store_dwordx2 v[24:25], v29, s[28:31], 0 offen
	v_cndmask_b32_e64 v24, v8, v9, s[16:17]
	v_add_u32_e32 v24, v23, v24
	buffer_store_dwordx2 v[26:27], v24, s[28:31], 0 offen
	v_accvgpr_read_b32 v24, a108
	v_cvt_f16_f32_e32 v24, v24
	s_waitcnt lgkmcnt(0)
	s_barrier
	s_and_b64 s[16:17], s[14:15], s[2:3]
	ds_write_b16 v1, v24
	v_accvgpr_read_b32 v24, a109
	v_cvt_f16_f32_e32 v24, v24
	v_cndmask_b32_e64 v29, v10, v11, s[16:17]
	v_add_u32_e32 v29, v23, v29
	s_and_b64 s[16:17], s[14:15], s[4:5]
	ds_write_b16 v1, v24 offset:128
	v_accvgpr_read_b32 v24, a110
	v_cvt_f16_f32_e32 v24, v24
	ds_write_b16 v1, v24 offset:256
	v_accvgpr_read_b32 v24, a111
	v_cvt_f16_f32_e32 v24, v24
	;; [unrolled: 3-line block ×6, first 2 shown]
	ds_write_b16 v1, v24 offset:64
	s_waitcnt lgkmcnt(0)
	s_barrier
	ds_read2_b64 v[24:27], v3 offset1:1
	s_waitcnt lgkmcnt(0)
	buffer_store_dwordx2 v[24:25], v29, s[28:31], 0 offen
	v_cndmask_b32_e64 v24, v12, v13, s[16:17]
	v_add_u32_e32 v23, v23, v24
	v_accvgpr_read_b32 v24, a100
	v_cvt_f16_f32_e32 v24, v24
	buffer_store_dwordx2 v[26:27], v23, s[28:31], 0 offen
	s_waitcnt lgkmcnt(0)
	s_barrier
	ds_write_b16 v1, v24
	v_accvgpr_read_b32 v24, a101
	v_cvt_f16_f32_e32 v24, v24
	v_add_u32_e32 v23, s18, v28
	s_and_b64 s[16:17], vcc, s[14:15]
	v_lshlrev_b32_e32 v28, 1, v23
	ds_write_b16 v1, v24 offset:128
	v_accvgpr_read_b32 v24, a102
	v_cvt_f16_f32_e32 v24, v24
	v_cndmask_b32_e64 v29, v5, 0, s[16:17]
	v_add_u32_e32 v29, v28, v29
	s_and_b64 s[14:15], s[14:15], s[0:1]
	ds_write_b16 v1, v24 offset:256
	v_accvgpr_read_b32 v24, a103
	v_cvt_f16_f32_e32 v24, v24
	v_add_u32_e32 v23, s18, v23
	ds_write_b16 v1, v24 offset:384
	v_accvgpr_read_b32 v24, a95
	v_cvt_f16_f32_e32 v24, v24
	ds_write_b16 v1, v24 offset:448
	v_accvgpr_read_b32 v24, a94
	v_cvt_f16_f32_e32 v24, v24
	;; [unrolled: 3-line block ×4, first 2 shown]
	ds_write_b16 v1, v24 offset:64
	s_waitcnt lgkmcnt(0)
	s_barrier
	ds_read2_b64 v[24:27], v3 offset1:1
	s_waitcnt lgkmcnt(0)
	buffer_store_dwordx2 v[24:25], v29, s[28:31], 0 offen
	v_cndmask_b32_e64 v24, v2, 8, s[14:15]
	v_add_u32_e32 v24, v28, v24
	buffer_store_dwordx2 v[26:27], v24, s[28:31], 0 offen
	v_accvgpr_read_b32 v24, a96
	v_cvt_f16_f32_e32 v24, v24
	s_waitcnt lgkmcnt(0)
	s_barrier
	v_add_u32_e32 v28, 0x80, v4
	ds_write_b16 v1, v24
	v_accvgpr_read_b32 v24, a97
	v_cvt_f16_f32_e32 v24, v24
	v_cmp_gt_i32_e64 s[14:15], s20, v28
	s_and_b64 s[16:17], vcc, s[14:15]
	v_lshlrev_b32_e32 v28, 1, v23
	ds_write_b16 v1, v24 offset:128
	v_accvgpr_read_b32 v24, a98
	v_cvt_f16_f32_e32 v24, v24
	v_cndmask_b32_e64 v29, v5, 0, s[16:17]
	v_add_u32_e32 v29, v28, v29
	s_and_b64 s[16:17], s[14:15], s[0:1]
	ds_write_b16 v1, v24 offset:256
	v_accvgpr_read_b32 v24, a99
	v_cvt_f16_f32_e32 v24, v24
	ds_write_b16 v1, v24 offset:384
	v_accvgpr_read_b32 v24, a227
	v_cvt_f16_f32_e32 v24, v24
	;; [unrolled: 3-line block ×5, first 2 shown]
	ds_write_b16 v1, v24 offset:64
	s_waitcnt lgkmcnt(0)
	s_barrier
	ds_read2_b64 v[24:27], v3 offset1:1
	s_waitcnt lgkmcnt(0)
	buffer_store_dwordx2 v[24:25], v29, s[28:31], 0 offen
	v_cndmask_b32_e64 v24, v2, 8, s[16:17]
	v_add_u32_e32 v24, v28, v24
	buffer_store_dwordx2 v[26:27], v24, s[28:31], 0 offen
	v_accvgpr_read_b32 v24, a84
	v_cvt_f16_f32_e32 v24, v24
	s_waitcnt lgkmcnt(0)
	s_barrier
	s_and_b64 s[16:17], s[14:15], s[2:3]
	ds_write_b16 v1, v24
	v_accvgpr_read_b32 v24, a85
	v_cvt_f16_f32_e32 v24, v24
	v_cndmask_b32_e64 v29, v0, v14, s[16:17]
	v_add_u32_e32 v29, v28, v29
	s_and_b64 s[16:17], s[14:15], s[4:5]
	ds_write_b16 v1, v24 offset:128
	v_accvgpr_read_b32 v24, a86
	v_cvt_f16_f32_e32 v24, v24
	ds_write_b16 v1, v24 offset:256
	v_accvgpr_read_b32 v24, a87
	v_cvt_f16_f32_e32 v24, v24
	;; [unrolled: 3-line block ×6, first 2 shown]
	ds_write_b16 v1, v24 offset:64
	s_waitcnt lgkmcnt(0)
	s_barrier
	ds_read2_b64 v[24:27], v3 offset1:1
	s_waitcnt lgkmcnt(0)
	buffer_store_dwordx2 v[24:25], v29, s[28:31], 0 offen
	v_cndmask_b32_e64 v24, v15, v16, s[16:17]
	v_add_u32_e32 v24, v28, v24
	buffer_store_dwordx2 v[26:27], v24, s[28:31], 0 offen
	v_accvgpr_read_b32 v24, a76
	v_cvt_f16_f32_e32 v24, v24
	s_waitcnt lgkmcnt(0)
	s_barrier
	s_and_b64 s[16:17], s[14:15], s[6:7]
	ds_write_b16 v1, v24
	v_accvgpr_read_b32 v24, a77
	v_cvt_f16_f32_e32 v24, v24
	v_cndmask_b32_e64 v29, v17, v18, s[16:17]
	v_add_u32_e32 v29, v28, v29
	s_and_b64 s[16:17], s[14:15], s[8:9]
	ds_write_b16 v1, v24 offset:128
	v_accvgpr_read_b32 v24, a78
	v_cvt_f16_f32_e32 v24, v24
	ds_write_b16 v1, v24 offset:256
	v_accvgpr_read_b32 v24, a79
	v_cvt_f16_f32_e32 v24, v24
	;; [unrolled: 3-line block ×6, first 2 shown]
	ds_write_b16 v1, v24 offset:64
	s_waitcnt lgkmcnt(0)
	s_barrier
	ds_read2_b64 v[24:27], v3 offset1:1
	s_waitcnt lgkmcnt(0)
	buffer_store_dwordx2 v[24:25], v29, s[28:31], 0 offen
	v_cndmask_b32_e64 v24, v19, v20, s[16:17]
	v_add_u32_e32 v24, v28, v24
	buffer_store_dwordx2 v[26:27], v24, s[28:31], 0 offen
	v_accvgpr_read_b32 v24, a64
	v_cvt_f16_f32_e32 v24, v24
	s_waitcnt lgkmcnt(0)
	s_barrier
	s_and_b64 s[16:17], s[14:15], s[12:13]
	ds_write_b16 v1, v24
	v_accvgpr_read_b32 v24, a65
	v_cvt_f16_f32_e32 v24, v24
	v_add_u32_e32 v29, 0xc0, v23
	v_cndmask_b32_e64 v30, v5, 0, s[16:17]
	v_lshl_add_u32 v30, v29, 1, v30
	ds_write_b16 v1, v24 offset:128
	v_accvgpr_read_b32 v24, a66
	v_cvt_f16_f32_e32 v24, v24
	s_and_b64 s[14:15], s[14:15], s[10:11]
	ds_write_b16 v1, v24 offset:256
	v_accvgpr_read_b32 v24, a67
	v_cvt_f16_f32_e32 v24, v24
	ds_write_b16 v1, v24 offset:384
	v_accvgpr_read_b32 v24, a59
	v_cvt_f16_f32_e32 v24, v24
	;; [unrolled: 3-line block ×5, first 2 shown]
	ds_write_b16 v1, v24 offset:64
	s_waitcnt lgkmcnt(0)
	s_barrier
	ds_read2_b64 v[24:27], v3 offset1:1
	s_waitcnt lgkmcnt(0)
	buffer_store_dwordx2 v[24:25], v30, s[28:31], 0 offen
	v_cndmask_b32_e64 v24, v21, v22, s[14:15]
	v_add_u32_e32 v24, v28, v24
	buffer_store_dwordx2 v[26:27], v24, s[28:31], 0 offen
	v_accvgpr_read_b32 v24, a68
	v_cvt_f16_f32_e32 v24, v24
	s_waitcnt lgkmcnt(0)
	s_barrier
	v_add_u32_e32 v28, 0xa0, v4
	ds_write_b16 v1, v24
	v_accvgpr_read_b32 v24, a69
	v_cvt_f16_f32_e32 v24, v24
	v_cmp_gt_i32_e64 s[14:15], s20, v28
	s_and_b64 s[16:17], s[14:15], s[12:13]
	v_add_lshl_u32 v28, v29, s18, 1
	ds_write_b16 v1, v24 offset:128
	v_accvgpr_read_b32 v24, a70
	v_cvt_f16_f32_e32 v24, v24
	v_cndmask_b32_e64 v29, v5, 0, s[16:17]
	v_add_u32_e32 v29, v28, v29
	s_and_b64 s[16:17], s[14:15], s[10:11]
	ds_write_b16 v1, v24 offset:256
	v_accvgpr_read_b32 v24, a71
	v_cvt_f16_f32_e32 v24, v24
	v_add_u32_e32 v4, 0xc0, v4
	ds_write_b16 v1, v24 offset:384
	v_accvgpr_read_b32 v24, a63
	v_cvt_f16_f32_e32 v24, v24
	ds_write_b16 v1, v24 offset:448
	v_accvgpr_read_b32 v24, a62
	v_cvt_f16_f32_e32 v24, v24
	;; [unrolled: 3-line block ×4, first 2 shown]
	ds_write_b16 v1, v24 offset:64
	s_waitcnt lgkmcnt(0)
	s_barrier
	ds_read2_b64 v[24:27], v3 offset1:1
	s_waitcnt lgkmcnt(0)
	buffer_store_dwordx2 v[24:25], v29, s[28:31], 0 offen
	v_cndmask_b32_e64 v24, v2, 8, s[16:17]
	v_add_u32_e32 v24, v28, v24
	buffer_store_dwordx2 v[26:27], v24, s[28:31], 0 offen
	v_accvgpr_read_b32 v24, a52
	v_cvt_f16_f32_e32 v24, v24
	s_waitcnt lgkmcnt(0)
	s_barrier
	s_and_b64 s[16:17], s[14:15], s[6:7]
	ds_write_b16 v1, v24
	v_accvgpr_read_b32 v24, a53
	v_cvt_f16_f32_e32 v24, v24
	v_cndmask_b32_e64 v6, v6, v7, s[16:17]
	v_add_u32_e32 v6, v28, v6
	s_and_b64 s[16:17], s[14:15], s[8:9]
	ds_write_b16 v1, v24 offset:128
	v_accvgpr_read_b32 v24, a54
	v_cvt_f16_f32_e32 v24, v24
	ds_write_b16 v1, v24 offset:256
	v_accvgpr_read_b32 v24, a55
	v_cvt_f16_f32_e32 v24, v24
	ds_write_b16 v1, v24 offset:384
	v_accvgpr_read_b32 v24, a51
	v_cvt_f16_f32_e32 v24, v24
	ds_write_b16 v1, v24 offset:448
	v_accvgpr_read_b32 v24, a50
	v_cvt_f16_f32_e32 v24, v24
	ds_write_b16 v1, v24 offset:320
	v_accvgpr_read_b32 v24, a49
	v_cvt_f16_f32_e32 v24, v24
	ds_write_b16 v1, v24 offset:192
	v_accvgpr_read_b32 v24, a48
	v_cvt_f16_f32_e32 v24, v24
	ds_write_b16 v1, v24 offset:64
	s_waitcnt lgkmcnt(0)
	s_barrier
	ds_read2_b64 v[24:27], v3 offset1:1
	s_waitcnt lgkmcnt(0)
	buffer_store_dwordx2 v[24:25], v6, s[28:31], 0 offen
	v_cndmask_b32_e64 v6, v8, v9, s[16:17]
	v_add_u32_e32 v6, v28, v6
	buffer_store_dwordx2 v[26:27], v6, s[28:31], 0 offen
	v_accvgpr_read_b32 v6, a44
	v_cvt_f16_f32_e32 v6, v6
	s_waitcnt lgkmcnt(0)
	s_barrier
	s_and_b64 s[16:17], s[14:15], s[2:3]
	ds_write_b16 v1, v6
	v_accvgpr_read_b32 v6, a45
	v_cvt_f16_f32_e32 v6, v6
	v_cndmask_b32_e64 v10, v10, v11, s[16:17]
	v_add_u32_e32 v10, v28, v10
	s_and_b64 s[16:17], s[14:15], s[4:5]
	ds_write_b16 v1, v6 offset:128
	v_accvgpr_read_b32 v6, a46
	v_cvt_f16_f32_e32 v6, v6
	ds_write_b16 v1, v6 offset:256
	v_accvgpr_read_b32 v6, a47
	v_cvt_f16_f32_e32 v6, v6
	ds_write_b16 v1, v6 offset:384
	v_accvgpr_read_b32 v6, a43
	v_cvt_f16_f32_e32 v6, v6
	ds_write_b16 v1, v6 offset:448
	v_accvgpr_read_b32 v6, a42
	v_cvt_f16_f32_e32 v6, v6
	ds_write_b16 v1, v6 offset:320
	v_accvgpr_read_b32 v6, a41
	v_cvt_f16_f32_e32 v6, v6
	ds_write_b16 v1, v6 offset:192
	v_accvgpr_read_b32 v6, a40
	v_cvt_f16_f32_e32 v6, v6
	ds_write_b16 v1, v6 offset:64
	s_waitcnt lgkmcnt(0)
	s_barrier
	ds_read2_b64 v[6:9], v3 offset1:1
	s_waitcnt lgkmcnt(0)
	buffer_store_dwordx2 v[6:7], v10, s[28:31], 0 offen
	v_cndmask_b32_e64 v6, v12, v13, s[16:17]
	v_add_u32_e32 v6, v28, v6
	buffer_store_dwordx2 v[8:9], v6, s[28:31], 0 offen
	v_accvgpr_read_b32 v6, a228
	v_cvt_f16_f32_e32 v6, v6
	s_waitcnt lgkmcnt(0)
	s_barrier
	s_and_b64 s[16:17], vcc, s[14:15]
	ds_write_b16 v1, v6
	v_accvgpr_read_b32 v6, a229
	v_cvt_f16_f32_e32 v6, v6
	v_add_lshl_u32 v10, v23, s18, 1
	v_cndmask_b32_e64 v11, v5, 0, s[16:17]
	v_add_u32_e32 v11, v10, v11
	ds_write_b16 v1, v6 offset:128
	v_accvgpr_read_b32 v6, a230
	v_cvt_f16_f32_e32 v6, v6
	s_and_b64 s[14:15], s[14:15], s[0:1]
	ds_write_b16 v1, v6 offset:256
	v_accvgpr_read_b32 v6, a231
	v_cvt_f16_f32_e32 v6, v6
	ds_write_b16 v1, v6 offset:384
	v_accvgpr_read_b32 v6, a175
	v_cvt_f16_f32_e32 v6, v6
	;; [unrolled: 3-line block ×5, first 2 shown]
	ds_write_b16 v1, v6 offset:64
	s_waitcnt lgkmcnt(0)
	s_barrier
	ds_read2_b64 v[6:9], v3 offset1:1
	s_waitcnt lgkmcnt(0)
	buffer_store_dwordx2 v[6:7], v11, s[28:31], 0 offen
	v_cndmask_b32_e64 v6, v2, 8, s[14:15]
	v_add_u32_e32 v6, v10, v6
	buffer_store_dwordx2 v[8:9], v6, s[28:31], 0 offen
	v_accvgpr_read_b32 v6, a36
	v_cvt_f16_f32_e32 v6, v6
	s_waitcnt lgkmcnt(0)
	s_barrier
	v_cmp_gt_i32_e64 s[14:15], s20, v4
	ds_write_b16 v1, v6
	v_accvgpr_read_b32 v6, a37
	v_cvt_f16_f32_e32 v6, v6
	s_and_b64 s[16:17], vcc, s[14:15]
	s_and_b64 s[0:1], s[14:15], s[0:1]
	v_lshl_add_u32 v10, s25, 6, v10
	ds_write_b16 v1, v6 offset:128
	v_accvgpr_read_b32 v6, a38
	v_cvt_f16_f32_e32 v6, v6
	v_cndmask_b32_e64 v4, v5, 0, s[16:17]
	v_cndmask_b32_e64 v2, v2, 8, s[0:1]
	v_add_u32_e32 v4, v10, v4
	ds_write_b16 v1, v6 offset:256
	v_accvgpr_read_b32 v6, a39
	v_cvt_f16_f32_e32 v6, v6
	v_add_u32_e32 v2, v10, v2
	s_and_b64 vcc, s[14:15], s[2:3]
	v_cndmask_b32_e32 v0, v0, v14, vcc
	ds_write_b16 v1, v6 offset:384
	v_accvgpr_read_b32 v6, a211
	v_cvt_f16_f32_e32 v6, v6
	v_add_u32_e32 v0, v10, v0
	s_and_b64 vcc, s[14:15], s[4:5]
	ds_write_b16 v1, v6 offset:448
	v_accvgpr_read_b32 v6, a210
	v_cvt_f16_f32_e32 v6, v6
	ds_write_b16 v1, v6 offset:320
	v_accvgpr_read_b32 v6, a209
	v_cvt_f16_f32_e32 v6, v6
	;; [unrolled: 3-line block ×3, first 2 shown]
	ds_write_b16 v1, v6 offset:64
	s_waitcnt lgkmcnt(0)
	s_barrier
	ds_read2_b64 v[6:9], v3 offset1:1
	s_waitcnt lgkmcnt(0)
	buffer_store_dwordx2 v[6:7], v4, s[28:31], 0 offen
	buffer_store_dwordx2 v[8:9], v2, s[28:31], 0 offen
	v_accvgpr_read_b32 v2, a200
	v_cvt_f16_f32_e32 v2, v2
	s_waitcnt lgkmcnt(0)
	s_barrier
	ds_write_b16 v1, v2
	v_accvgpr_read_b32 v2, a201
	v_cvt_f16_f32_e32 v2, v2
	ds_write_b16 v1, v2 offset:128
	v_accvgpr_read_b32 v2, a202
	v_cvt_f16_f32_e32 v2, v2
	ds_write_b16 v1, v2 offset:256
	;; [unrolled: 3-line block ×7, first 2 shown]
	s_waitcnt lgkmcnt(0)
	s_barrier
	ds_read2_b64 v[4:7], v3 offset1:1
	s_waitcnt lgkmcnt(0)
	buffer_store_dwordx2 v[4:5], v0, s[28:31], 0 offen
	v_cndmask_b32_e32 v0, v15, v16, vcc
	v_add_u32_e32 v0, v10, v0
	buffer_store_dwordx2 v[6:7], v0, s[28:31], 0 offen
	v_accvgpr_read_b32 v0, a188
	v_cvt_f16_f32_e32 v0, v0
	s_waitcnt lgkmcnt(0)
	s_barrier
	s_and_b64 vcc, s[14:15], s[6:7]
	ds_write_b16 v1, v0
	v_accvgpr_read_b32 v0, a189
	v_cvt_f16_f32_e32 v0, v0
	ds_write_b16 v1, v0 offset:128
	v_accvgpr_read_b32 v0, a190
	v_cvt_f16_f32_e32 v0, v0
	ds_write_b16 v1, v0 offset:256
	v_accvgpr_read_b32 v0, a191
	v_cvt_f16_f32_e32 v0, v0
	ds_write_b16 v1, v0 offset:384
	v_accvgpr_read_b32 v0, a187
	v_cvt_f16_f32_e32 v0, v0
	ds_write_b16 v1, v0 offset:448
	v_accvgpr_read_b32 v0, a186
	v_cvt_f16_f32_e32 v0, v0
	ds_write_b16 v1, v0 offset:320
	v_accvgpr_read_b32 v0, a185
	v_cvt_f16_f32_e32 v0, v0
	ds_write_b16 v1, v0 offset:192
	v_accvgpr_read_b32 v0, a184
	v_cvt_f16_f32_e32 v0, v0
	ds_write_b16 v1, v0 offset:64
	s_waitcnt lgkmcnt(0)
	s_barrier
	ds_read2_b64 v[4:7], v3 offset1:1
	v_cndmask_b32_e32 v0, v17, v18, vcc
	v_add_u32_e32 v0, v10, v0
	s_and_b64 vcc, s[14:15], s[8:9]
	s_waitcnt lgkmcnt(0)
	buffer_store_dwordx2 v[4:5], v0, s[28:31], 0 offen
	v_cndmask_b32_e32 v0, v19, v20, vcc
	v_add_u32_e32 v0, v10, v0
	buffer_store_dwordx2 v[6:7], v0, s[28:31], 0 offen
	v_accvgpr_read_b32 v0, a168
	v_cvt_f16_f32_e32 v0, v0
	s_waitcnt lgkmcnt(0)
	s_barrier
	s_and_b64 vcc, s[14:15], s[12:13]
	ds_write_b16 v1, v0
	v_accvgpr_read_b32 v0, a169
	v_cvt_f16_f32_e32 v0, v0
	v_mov_b32_e32 v4, 0x80000180
	v_mov_b32_e32 v5, 0x180
	v_cndmask_b32_e32 v4, v4, v5, vcc
	ds_write_b16 v1, v0 offset:128
	v_accvgpr_read_b32 v0, a170
	v_cvt_f16_f32_e32 v0, v0
	v_add_u32_e32 v4, v10, v4
	s_and_b64 vcc, s[14:15], s[10:11]
	ds_write_b16 v1, v0 offset:256
	v_accvgpr_read_b32 v0, a171
	v_cvt_f16_f32_e32 v0, v0
	ds_write_b16 v1, v0 offset:384
	v_accvgpr_read_b32 v0, a183
	v_cvt_f16_f32_e32 v0, v0
	;; [unrolled: 3-line block ×5, first 2 shown]
	ds_write_b16 v1, v0 offset:64
	s_waitcnt lgkmcnt(0)
	s_barrier
	ds_read2_b64 v[0:3], v3 offset1:1
	s_waitcnt lgkmcnt(0)
	buffer_store_dwordx2 v[0:1], v4, s[28:31], 0 offen
	v_cndmask_b32_e32 v0, v21, v22, vcc
	v_add_u32_e32 v0, v10, v0
	buffer_store_dwordx2 v[2:3], v0, s[28:31], 0 offen
	s_endpgm
	.section	.rodata,"a",@progbits
	.p2align	6, 0x0
	.amdhsa_kernel _ZN2ck27kernel_gemm_xdl_cshuffle_v3INS_28GridwiseGemm_xdl_cshuffle_v3INS_13tensor_layout4gemm8RowMajorENS3_11ColumnMajorES4_NS_9f8_fnuz_tES6_fDF16_DF16_NS_16tensor_operation12element_wise11PassThroughES9_S9_LNS7_6device18GemmSpecializationE0ELi256ELi224ELi256ELi128ELi16ELi16ELi16ELi16ELi7ELi8ENS_8SequenceIJLi8ELi32ELi1EEEENSC_IJLi1ELi0ELi2EEEESE_Li2ELi16ELi16ELb0ELi0ESD_SE_SE_Li2ELi16ELi16ELb0ELi0ELi1ELi2ENSC_IJLi1ELi32ELi1ELi8EEEELi4ELNS_26BlockGemmPipelineSchedulerE0ELNS_24BlockGemmPipelineVersionE2ES6_S6_Lb0ELb0ELb0ELi0ELb0EEELb1ELNS_25InMemoryDataOperationEnumE0ELi1ELNS_10TailNumberE10EEEvNT_8ArgumentE
		.amdhsa_group_segment_fixed_size 61440
		.amdhsa_private_segment_fixed_size 1152
		.amdhsa_kernarg_size 112
		.amdhsa_user_sgpr_count 2
		.amdhsa_user_sgpr_dispatch_ptr 0
		.amdhsa_user_sgpr_queue_ptr 0
		.amdhsa_user_sgpr_kernarg_segment_ptr 1
		.amdhsa_user_sgpr_dispatch_id 0
		.amdhsa_user_sgpr_kernarg_preload_length 0
		.amdhsa_user_sgpr_kernarg_preload_offset 0
		.amdhsa_user_sgpr_private_segment_size 0
		.amdhsa_uses_dynamic_stack 0
		.amdhsa_enable_private_segment 1
		.amdhsa_system_sgpr_workgroup_id_x 1
		.amdhsa_system_sgpr_workgroup_id_y 0
		.amdhsa_system_sgpr_workgroup_id_z 1
		.amdhsa_system_sgpr_workgroup_info 0
		.amdhsa_system_vgpr_workitem_id 0
		.amdhsa_next_free_vgpr 512
		.amdhsa_next_free_sgpr 32
		.amdhsa_accum_offset 256
		.amdhsa_reserve_vcc 1
		.amdhsa_float_round_mode_32 0
		.amdhsa_float_round_mode_16_64 0
		.amdhsa_float_denorm_mode_32 3
		.amdhsa_float_denorm_mode_16_64 3
		.amdhsa_dx10_clamp 1
		.amdhsa_ieee_mode 1
		.amdhsa_fp16_overflow 0
		.amdhsa_tg_split 0
		.amdhsa_exception_fp_ieee_invalid_op 0
		.amdhsa_exception_fp_denorm_src 0
		.amdhsa_exception_fp_ieee_div_zero 0
		.amdhsa_exception_fp_ieee_overflow 0
		.amdhsa_exception_fp_ieee_underflow 0
		.amdhsa_exception_fp_ieee_inexact 0
		.amdhsa_exception_int_div_zero 0
	.end_amdhsa_kernel
	.section	.text._ZN2ck27kernel_gemm_xdl_cshuffle_v3INS_28GridwiseGemm_xdl_cshuffle_v3INS_13tensor_layout4gemm8RowMajorENS3_11ColumnMajorES4_NS_9f8_fnuz_tES6_fDF16_DF16_NS_16tensor_operation12element_wise11PassThroughES9_S9_LNS7_6device18GemmSpecializationE0ELi256ELi224ELi256ELi128ELi16ELi16ELi16ELi16ELi7ELi8ENS_8SequenceIJLi8ELi32ELi1EEEENSC_IJLi1ELi0ELi2EEEESE_Li2ELi16ELi16ELb0ELi0ESD_SE_SE_Li2ELi16ELi16ELb0ELi0ELi1ELi2ENSC_IJLi1ELi32ELi1ELi8EEEELi4ELNS_26BlockGemmPipelineSchedulerE0ELNS_24BlockGemmPipelineVersionE2ES6_S6_Lb0ELb0ELb0ELi0ELb0EEELb1ELNS_25InMemoryDataOperationEnumE0ELi1ELNS_10TailNumberE10EEEvNT_8ArgumentE,"axG",@progbits,_ZN2ck27kernel_gemm_xdl_cshuffle_v3INS_28GridwiseGemm_xdl_cshuffle_v3INS_13tensor_layout4gemm8RowMajorENS3_11ColumnMajorES4_NS_9f8_fnuz_tES6_fDF16_DF16_NS_16tensor_operation12element_wise11PassThroughES9_S9_LNS7_6device18GemmSpecializationE0ELi256ELi224ELi256ELi128ELi16ELi16ELi16ELi16ELi7ELi8ENS_8SequenceIJLi8ELi32ELi1EEEENSC_IJLi1ELi0ELi2EEEESE_Li2ELi16ELi16ELb0ELi0ESD_SE_SE_Li2ELi16ELi16ELb0ELi0ELi1ELi2ENSC_IJLi1ELi32ELi1ELi8EEEELi4ELNS_26BlockGemmPipelineSchedulerE0ELNS_24BlockGemmPipelineVersionE2ES6_S6_Lb0ELb0ELb0ELi0ELb0EEELb1ELNS_25InMemoryDataOperationEnumE0ELi1ELNS_10TailNumberE10EEEvNT_8ArgumentE,comdat
.Lfunc_end2:
	.size	_ZN2ck27kernel_gemm_xdl_cshuffle_v3INS_28GridwiseGemm_xdl_cshuffle_v3INS_13tensor_layout4gemm8RowMajorENS3_11ColumnMajorES4_NS_9f8_fnuz_tES6_fDF16_DF16_NS_16tensor_operation12element_wise11PassThroughES9_S9_LNS7_6device18GemmSpecializationE0ELi256ELi224ELi256ELi128ELi16ELi16ELi16ELi16ELi7ELi8ENS_8SequenceIJLi8ELi32ELi1EEEENSC_IJLi1ELi0ELi2EEEESE_Li2ELi16ELi16ELb0ELi0ESD_SE_SE_Li2ELi16ELi16ELb0ELi0ELi1ELi2ENSC_IJLi1ELi32ELi1ELi8EEEELi4ELNS_26BlockGemmPipelineSchedulerE0ELNS_24BlockGemmPipelineVersionE2ES6_S6_Lb0ELb0ELb0ELi0ELb0EEELb1ELNS_25InMemoryDataOperationEnumE0ELi1ELNS_10TailNumberE10EEEvNT_8ArgumentE, .Lfunc_end2-_ZN2ck27kernel_gemm_xdl_cshuffle_v3INS_28GridwiseGemm_xdl_cshuffle_v3INS_13tensor_layout4gemm8RowMajorENS3_11ColumnMajorES4_NS_9f8_fnuz_tES6_fDF16_DF16_NS_16tensor_operation12element_wise11PassThroughES9_S9_LNS7_6device18GemmSpecializationE0ELi256ELi224ELi256ELi128ELi16ELi16ELi16ELi16ELi7ELi8ENS_8SequenceIJLi8ELi32ELi1EEEENSC_IJLi1ELi0ELi2EEEESE_Li2ELi16ELi16ELb0ELi0ESD_SE_SE_Li2ELi16ELi16ELb0ELi0ELi1ELi2ENSC_IJLi1ELi32ELi1ELi8EEEELi4ELNS_26BlockGemmPipelineSchedulerE0ELNS_24BlockGemmPipelineVersionE2ES6_S6_Lb0ELb0ELb0ELi0ELb0EEELb1ELNS_25InMemoryDataOperationEnumE0ELi1ELNS_10TailNumberE10EEEvNT_8ArgumentE
                                        ; -- End function
	.section	.AMDGPU.csdata,"",@progbits
; Kernel info:
; codeLenInByte = 38100
; NumSgprs: 38
; NumVgprs: 256
; NumAgprs: 256
; TotalNumVgprs: 512
; ScratchSize: 1152
; MemoryBound: 0
; FloatMode: 240
; IeeeMode: 1
; LDSByteSize: 61440 bytes/workgroup (compile time only)
; SGPRBlocks: 4
; VGPRBlocks: 63
; NumSGPRsForWavesPerEU: 38
; NumVGPRsForWavesPerEU: 512
; AccumOffset: 256
; Occupancy: 1
; WaveLimiterHint : 0
; COMPUTE_PGM_RSRC2:SCRATCH_EN: 1
; COMPUTE_PGM_RSRC2:USER_SGPR: 2
; COMPUTE_PGM_RSRC2:TRAP_HANDLER: 0
; COMPUTE_PGM_RSRC2:TGID_X_EN: 1
; COMPUTE_PGM_RSRC2:TGID_Y_EN: 0
; COMPUTE_PGM_RSRC2:TGID_Z_EN: 1
; COMPUTE_PGM_RSRC2:TIDIG_COMP_CNT: 0
; COMPUTE_PGM_RSRC3_GFX90A:ACCUM_OFFSET: 63
; COMPUTE_PGM_RSRC3_GFX90A:TG_SPLIT: 0
	.section	.text._ZN2ck27kernel_gemm_xdl_cshuffle_v3INS_28GridwiseGemm_xdl_cshuffle_v3INS_13tensor_layout4gemm8RowMajorENS3_11ColumnMajorES4_NS_9f8_fnuz_tES6_fDF16_DF16_NS_16tensor_operation12element_wise11PassThroughES9_S9_LNS7_6device18GemmSpecializationE0ELi256ELi224ELi256ELi128ELi16ELi16ELi16ELi16ELi7ELi4ENS_8SequenceIJLi8ELi32ELi1EEEENSC_IJLi1ELi0ELi2EEEESE_Li2ELi16ELi16ELb0ELi0ESD_SE_SE_Li2ELi16ELi16ELb0ELi0ELi1ELi2ENSC_IJLi1ELi32ELi1ELi8EEEELi4ELNS_26BlockGemmPipelineSchedulerE0ELNS_24BlockGemmPipelineVersionE2ES6_S6_Lb0ELb0ELb0ELi0ELb0EEELb1ELNS_25InMemoryDataOperationEnumE1ELi1ELNS_10TailNumberE10EEEvNT_8ArgumentE,"axG",@progbits,_ZN2ck27kernel_gemm_xdl_cshuffle_v3INS_28GridwiseGemm_xdl_cshuffle_v3INS_13tensor_layout4gemm8RowMajorENS3_11ColumnMajorES4_NS_9f8_fnuz_tES6_fDF16_DF16_NS_16tensor_operation12element_wise11PassThroughES9_S9_LNS7_6device18GemmSpecializationE0ELi256ELi224ELi256ELi128ELi16ELi16ELi16ELi16ELi7ELi4ENS_8SequenceIJLi8ELi32ELi1EEEENSC_IJLi1ELi0ELi2EEEESE_Li2ELi16ELi16ELb0ELi0ESD_SE_SE_Li2ELi16ELi16ELb0ELi0ELi1ELi2ENSC_IJLi1ELi32ELi1ELi8EEEELi4ELNS_26BlockGemmPipelineSchedulerE0ELNS_24BlockGemmPipelineVersionE2ES6_S6_Lb0ELb0ELb0ELi0ELb0EEELb1ELNS_25InMemoryDataOperationEnumE1ELi1ELNS_10TailNumberE10EEEvNT_8ArgumentE,comdat
	.protected	_ZN2ck27kernel_gemm_xdl_cshuffle_v3INS_28GridwiseGemm_xdl_cshuffle_v3INS_13tensor_layout4gemm8RowMajorENS3_11ColumnMajorES4_NS_9f8_fnuz_tES6_fDF16_DF16_NS_16tensor_operation12element_wise11PassThroughES9_S9_LNS7_6device18GemmSpecializationE0ELi256ELi224ELi256ELi128ELi16ELi16ELi16ELi16ELi7ELi4ENS_8SequenceIJLi8ELi32ELi1EEEENSC_IJLi1ELi0ELi2EEEESE_Li2ELi16ELi16ELb0ELi0ESD_SE_SE_Li2ELi16ELi16ELb0ELi0ELi1ELi2ENSC_IJLi1ELi32ELi1ELi8EEEELi4ELNS_26BlockGemmPipelineSchedulerE0ELNS_24BlockGemmPipelineVersionE2ES6_S6_Lb0ELb0ELb0ELi0ELb0EEELb1ELNS_25InMemoryDataOperationEnumE1ELi1ELNS_10TailNumberE10EEEvNT_8ArgumentE ; -- Begin function _ZN2ck27kernel_gemm_xdl_cshuffle_v3INS_28GridwiseGemm_xdl_cshuffle_v3INS_13tensor_layout4gemm8RowMajorENS3_11ColumnMajorES4_NS_9f8_fnuz_tES6_fDF16_DF16_NS_16tensor_operation12element_wise11PassThroughES9_S9_LNS7_6device18GemmSpecializationE0ELi256ELi224ELi256ELi128ELi16ELi16ELi16ELi16ELi7ELi4ENS_8SequenceIJLi8ELi32ELi1EEEENSC_IJLi1ELi0ELi2EEEESE_Li2ELi16ELi16ELb0ELi0ESD_SE_SE_Li2ELi16ELi16ELb0ELi0ELi1ELi2ENSC_IJLi1ELi32ELi1ELi8EEEELi4ELNS_26BlockGemmPipelineSchedulerE0ELNS_24BlockGemmPipelineVersionE2ES6_S6_Lb0ELb0ELb0ELi0ELb0EEELb1ELNS_25InMemoryDataOperationEnumE1ELi1ELNS_10TailNumberE10EEEvNT_8ArgumentE
	.globl	_ZN2ck27kernel_gemm_xdl_cshuffle_v3INS_28GridwiseGemm_xdl_cshuffle_v3INS_13tensor_layout4gemm8RowMajorENS3_11ColumnMajorES4_NS_9f8_fnuz_tES6_fDF16_DF16_NS_16tensor_operation12element_wise11PassThroughES9_S9_LNS7_6device18GemmSpecializationE0ELi256ELi224ELi256ELi128ELi16ELi16ELi16ELi16ELi7ELi4ENS_8SequenceIJLi8ELi32ELi1EEEENSC_IJLi1ELi0ELi2EEEESE_Li2ELi16ELi16ELb0ELi0ESD_SE_SE_Li2ELi16ELi16ELb0ELi0ELi1ELi2ENSC_IJLi1ELi32ELi1ELi8EEEELi4ELNS_26BlockGemmPipelineSchedulerE0ELNS_24BlockGemmPipelineVersionE2ES6_S6_Lb0ELb0ELb0ELi0ELb0EEELb1ELNS_25InMemoryDataOperationEnumE1ELi1ELNS_10TailNumberE10EEEvNT_8ArgumentE
	.p2align	8
	.type	_ZN2ck27kernel_gemm_xdl_cshuffle_v3INS_28GridwiseGemm_xdl_cshuffle_v3INS_13tensor_layout4gemm8RowMajorENS3_11ColumnMajorES4_NS_9f8_fnuz_tES6_fDF16_DF16_NS_16tensor_operation12element_wise11PassThroughES9_S9_LNS7_6device18GemmSpecializationE0ELi256ELi224ELi256ELi128ELi16ELi16ELi16ELi16ELi7ELi4ENS_8SequenceIJLi8ELi32ELi1EEEENSC_IJLi1ELi0ELi2EEEESE_Li2ELi16ELi16ELb0ELi0ESD_SE_SE_Li2ELi16ELi16ELb0ELi0ELi1ELi2ENSC_IJLi1ELi32ELi1ELi8EEEELi4ELNS_26BlockGemmPipelineSchedulerE0ELNS_24BlockGemmPipelineVersionE2ES6_S6_Lb0ELb0ELb0ELi0ELb0EEELb1ELNS_25InMemoryDataOperationEnumE1ELi1ELNS_10TailNumberE10EEEvNT_8ArgumentE,@function
_ZN2ck27kernel_gemm_xdl_cshuffle_v3INS_28GridwiseGemm_xdl_cshuffle_v3INS_13tensor_layout4gemm8RowMajorENS3_11ColumnMajorES4_NS_9f8_fnuz_tES6_fDF16_DF16_NS_16tensor_operation12element_wise11PassThroughES9_S9_LNS7_6device18GemmSpecializationE0ELi256ELi224ELi256ELi128ELi16ELi16ELi16ELi16ELi7ELi4ENS_8SequenceIJLi8ELi32ELi1EEEENSC_IJLi1ELi0ELi2EEEESE_Li2ELi16ELi16ELb0ELi0ESD_SE_SE_Li2ELi16ELi16ELb0ELi0ELi1ELi2ENSC_IJLi1ELi32ELi1ELi8EEEELi4ELNS_26BlockGemmPipelineSchedulerE0ELNS_24BlockGemmPipelineVersionE2ES6_S6_Lb0ELb0ELb0ELi0ELb0EEELb1ELNS_25InMemoryDataOperationEnumE1ELi1ELNS_10TailNumberE10EEEvNT_8ArgumentE: ; @_ZN2ck27kernel_gemm_xdl_cshuffle_v3INS_28GridwiseGemm_xdl_cshuffle_v3INS_13tensor_layout4gemm8RowMajorENS3_11ColumnMajorES4_NS_9f8_fnuz_tES6_fDF16_DF16_NS_16tensor_operation12element_wise11PassThroughES9_S9_LNS7_6device18GemmSpecializationE0ELi256ELi224ELi256ELi128ELi16ELi16ELi16ELi16ELi7ELi4ENS_8SequenceIJLi8ELi32ELi1EEEENSC_IJLi1ELi0ELi2EEEESE_Li2ELi16ELi16ELb0ELi0ESD_SE_SE_Li2ELi16ELi16ELb0ELi0ELi1ELi2ENSC_IJLi1ELi32ELi1ELi8EEEELi4ELNS_26BlockGemmPipelineSchedulerE0ELNS_24BlockGemmPipelineVersionE2ES6_S6_Lb0ELb0ELb0ELi0ELb0EEELb1ELNS_25InMemoryDataOperationEnumE1ELi1ELNS_10TailNumberE10EEEvNT_8ArgumentE
; %bb.0:
	s_endpgm
	.section	.rodata,"a",@progbits
	.p2align	6, 0x0
	.amdhsa_kernel _ZN2ck27kernel_gemm_xdl_cshuffle_v3INS_28GridwiseGemm_xdl_cshuffle_v3INS_13tensor_layout4gemm8RowMajorENS3_11ColumnMajorES4_NS_9f8_fnuz_tES6_fDF16_DF16_NS_16tensor_operation12element_wise11PassThroughES9_S9_LNS7_6device18GemmSpecializationE0ELi256ELi224ELi256ELi128ELi16ELi16ELi16ELi16ELi7ELi4ENS_8SequenceIJLi8ELi32ELi1EEEENSC_IJLi1ELi0ELi2EEEESE_Li2ELi16ELi16ELb0ELi0ESD_SE_SE_Li2ELi16ELi16ELb0ELi0ELi1ELi2ENSC_IJLi1ELi32ELi1ELi8EEEELi4ELNS_26BlockGemmPipelineSchedulerE0ELNS_24BlockGemmPipelineVersionE2ES6_S6_Lb0ELb0ELb0ELi0ELb0EEELb1ELNS_25InMemoryDataOperationEnumE1ELi1ELNS_10TailNumberE10EEEvNT_8ArgumentE
		.amdhsa_group_segment_fixed_size 0
		.amdhsa_private_segment_fixed_size 0
		.amdhsa_kernarg_size 112
		.amdhsa_user_sgpr_count 2
		.amdhsa_user_sgpr_dispatch_ptr 0
		.amdhsa_user_sgpr_queue_ptr 0
		.amdhsa_user_sgpr_kernarg_segment_ptr 1
		.amdhsa_user_sgpr_dispatch_id 0
		.amdhsa_user_sgpr_kernarg_preload_length 0
		.amdhsa_user_sgpr_kernarg_preload_offset 0
		.amdhsa_user_sgpr_private_segment_size 0
		.amdhsa_uses_dynamic_stack 0
		.amdhsa_enable_private_segment 0
		.amdhsa_system_sgpr_workgroup_id_x 1
		.amdhsa_system_sgpr_workgroup_id_y 0
		.amdhsa_system_sgpr_workgroup_id_z 0
		.amdhsa_system_sgpr_workgroup_info 0
		.amdhsa_system_vgpr_workitem_id 0
		.amdhsa_next_free_vgpr 1
		.amdhsa_next_free_sgpr 0
		.amdhsa_accum_offset 4
		.amdhsa_reserve_vcc 0
		.amdhsa_float_round_mode_32 0
		.amdhsa_float_round_mode_16_64 0
		.amdhsa_float_denorm_mode_32 3
		.amdhsa_float_denorm_mode_16_64 3
		.amdhsa_dx10_clamp 1
		.amdhsa_ieee_mode 1
		.amdhsa_fp16_overflow 0
		.amdhsa_tg_split 0
		.amdhsa_exception_fp_ieee_invalid_op 0
		.amdhsa_exception_fp_denorm_src 0
		.amdhsa_exception_fp_ieee_div_zero 0
		.amdhsa_exception_fp_ieee_overflow 0
		.amdhsa_exception_fp_ieee_underflow 0
		.amdhsa_exception_fp_ieee_inexact 0
		.amdhsa_exception_int_div_zero 0
	.end_amdhsa_kernel
	.section	.text._ZN2ck27kernel_gemm_xdl_cshuffle_v3INS_28GridwiseGemm_xdl_cshuffle_v3INS_13tensor_layout4gemm8RowMajorENS3_11ColumnMajorES4_NS_9f8_fnuz_tES6_fDF16_DF16_NS_16tensor_operation12element_wise11PassThroughES9_S9_LNS7_6device18GemmSpecializationE0ELi256ELi224ELi256ELi128ELi16ELi16ELi16ELi16ELi7ELi4ENS_8SequenceIJLi8ELi32ELi1EEEENSC_IJLi1ELi0ELi2EEEESE_Li2ELi16ELi16ELb0ELi0ESD_SE_SE_Li2ELi16ELi16ELb0ELi0ELi1ELi2ENSC_IJLi1ELi32ELi1ELi8EEEELi4ELNS_26BlockGemmPipelineSchedulerE0ELNS_24BlockGemmPipelineVersionE2ES6_S6_Lb0ELb0ELb0ELi0ELb0EEELb1ELNS_25InMemoryDataOperationEnumE1ELi1ELNS_10TailNumberE10EEEvNT_8ArgumentE,"axG",@progbits,_ZN2ck27kernel_gemm_xdl_cshuffle_v3INS_28GridwiseGemm_xdl_cshuffle_v3INS_13tensor_layout4gemm8RowMajorENS3_11ColumnMajorES4_NS_9f8_fnuz_tES6_fDF16_DF16_NS_16tensor_operation12element_wise11PassThroughES9_S9_LNS7_6device18GemmSpecializationE0ELi256ELi224ELi256ELi128ELi16ELi16ELi16ELi16ELi7ELi4ENS_8SequenceIJLi8ELi32ELi1EEEENSC_IJLi1ELi0ELi2EEEESE_Li2ELi16ELi16ELb0ELi0ESD_SE_SE_Li2ELi16ELi16ELb0ELi0ELi1ELi2ENSC_IJLi1ELi32ELi1ELi8EEEELi4ELNS_26BlockGemmPipelineSchedulerE0ELNS_24BlockGemmPipelineVersionE2ES6_S6_Lb0ELb0ELb0ELi0ELb0EEELb1ELNS_25InMemoryDataOperationEnumE1ELi1ELNS_10TailNumberE10EEEvNT_8ArgumentE,comdat
.Lfunc_end3:
	.size	_ZN2ck27kernel_gemm_xdl_cshuffle_v3INS_28GridwiseGemm_xdl_cshuffle_v3INS_13tensor_layout4gemm8RowMajorENS3_11ColumnMajorES4_NS_9f8_fnuz_tES6_fDF16_DF16_NS_16tensor_operation12element_wise11PassThroughES9_S9_LNS7_6device18GemmSpecializationE0ELi256ELi224ELi256ELi128ELi16ELi16ELi16ELi16ELi7ELi4ENS_8SequenceIJLi8ELi32ELi1EEEENSC_IJLi1ELi0ELi2EEEESE_Li2ELi16ELi16ELb0ELi0ESD_SE_SE_Li2ELi16ELi16ELb0ELi0ELi1ELi2ENSC_IJLi1ELi32ELi1ELi8EEEELi4ELNS_26BlockGemmPipelineSchedulerE0ELNS_24BlockGemmPipelineVersionE2ES6_S6_Lb0ELb0ELb0ELi0ELb0EEELb1ELNS_25InMemoryDataOperationEnumE1ELi1ELNS_10TailNumberE10EEEvNT_8ArgumentE, .Lfunc_end3-_ZN2ck27kernel_gemm_xdl_cshuffle_v3INS_28GridwiseGemm_xdl_cshuffle_v3INS_13tensor_layout4gemm8RowMajorENS3_11ColumnMajorES4_NS_9f8_fnuz_tES6_fDF16_DF16_NS_16tensor_operation12element_wise11PassThroughES9_S9_LNS7_6device18GemmSpecializationE0ELi256ELi224ELi256ELi128ELi16ELi16ELi16ELi16ELi7ELi4ENS_8SequenceIJLi8ELi32ELi1EEEENSC_IJLi1ELi0ELi2EEEESE_Li2ELi16ELi16ELb0ELi0ESD_SE_SE_Li2ELi16ELi16ELb0ELi0ELi1ELi2ENSC_IJLi1ELi32ELi1ELi8EEEELi4ELNS_26BlockGemmPipelineSchedulerE0ELNS_24BlockGemmPipelineVersionE2ES6_S6_Lb0ELb0ELb0ELi0ELb0EEELb1ELNS_25InMemoryDataOperationEnumE1ELi1ELNS_10TailNumberE10EEEvNT_8ArgumentE
                                        ; -- End function
	.section	.AMDGPU.csdata,"",@progbits
; Kernel info:
; codeLenInByte = 4
; NumSgprs: 6
; NumVgprs: 0
; NumAgprs: 0
; TotalNumVgprs: 0
; ScratchSize: 0
; MemoryBound: 0
; FloatMode: 240
; IeeeMode: 1
; LDSByteSize: 0 bytes/workgroup (compile time only)
; SGPRBlocks: 0
; VGPRBlocks: 0
; NumSGPRsForWavesPerEU: 6
; NumVGPRsForWavesPerEU: 1
; AccumOffset: 4
; Occupancy: 8
; WaveLimiterHint : 0
; COMPUTE_PGM_RSRC2:SCRATCH_EN: 0
; COMPUTE_PGM_RSRC2:USER_SGPR: 2
; COMPUTE_PGM_RSRC2:TRAP_HANDLER: 0
; COMPUTE_PGM_RSRC2:TGID_X_EN: 1
; COMPUTE_PGM_RSRC2:TGID_Y_EN: 0
; COMPUTE_PGM_RSRC2:TGID_Z_EN: 0
; COMPUTE_PGM_RSRC2:TIDIG_COMP_CNT: 0
; COMPUTE_PGM_RSRC3_GFX90A:ACCUM_OFFSET: 0
; COMPUTE_PGM_RSRC3_GFX90A:TG_SPLIT: 0
	.section	.text._ZN2ck27kernel_gemm_xdl_cshuffle_v3INS_28GridwiseGemm_xdl_cshuffle_v3INS_13tensor_layout4gemm8RowMajorENS3_11ColumnMajorES4_NS_9f8_fnuz_tES6_fDF16_DF16_NS_16tensor_operation12element_wise11PassThroughES9_S9_LNS7_6device18GemmSpecializationE0ELi256ELi224ELi256ELi128ELi16ELi16ELi16ELi16ELi7ELi4ENS_8SequenceIJLi8ELi32ELi1EEEENSC_IJLi1ELi0ELi2EEEESE_Li2ELi16ELi16ELb0ELi0ESD_SE_SE_Li2ELi16ELi16ELb0ELi0ELi1ELi2ENSC_IJLi1ELi32ELi1ELi8EEEELi4ELNS_26BlockGemmPipelineSchedulerE0ELNS_24BlockGemmPipelineVersionE2ES6_S6_Lb0ELb0ELb0ELi0ELb0EEELb1ELNS_25InMemoryDataOperationEnumE0ELi1ELNS_10TailNumberE10EEEvNT_8ArgumentE,"axG",@progbits,_ZN2ck27kernel_gemm_xdl_cshuffle_v3INS_28GridwiseGemm_xdl_cshuffle_v3INS_13tensor_layout4gemm8RowMajorENS3_11ColumnMajorES4_NS_9f8_fnuz_tES6_fDF16_DF16_NS_16tensor_operation12element_wise11PassThroughES9_S9_LNS7_6device18GemmSpecializationE0ELi256ELi224ELi256ELi128ELi16ELi16ELi16ELi16ELi7ELi4ENS_8SequenceIJLi8ELi32ELi1EEEENSC_IJLi1ELi0ELi2EEEESE_Li2ELi16ELi16ELb0ELi0ESD_SE_SE_Li2ELi16ELi16ELb0ELi0ELi1ELi2ENSC_IJLi1ELi32ELi1ELi8EEEELi4ELNS_26BlockGemmPipelineSchedulerE0ELNS_24BlockGemmPipelineVersionE2ES6_S6_Lb0ELb0ELb0ELi0ELb0EEELb1ELNS_25InMemoryDataOperationEnumE0ELi1ELNS_10TailNumberE10EEEvNT_8ArgumentE,comdat
	.protected	_ZN2ck27kernel_gemm_xdl_cshuffle_v3INS_28GridwiseGemm_xdl_cshuffle_v3INS_13tensor_layout4gemm8RowMajorENS3_11ColumnMajorES4_NS_9f8_fnuz_tES6_fDF16_DF16_NS_16tensor_operation12element_wise11PassThroughES9_S9_LNS7_6device18GemmSpecializationE0ELi256ELi224ELi256ELi128ELi16ELi16ELi16ELi16ELi7ELi4ENS_8SequenceIJLi8ELi32ELi1EEEENSC_IJLi1ELi0ELi2EEEESE_Li2ELi16ELi16ELb0ELi0ESD_SE_SE_Li2ELi16ELi16ELb0ELi0ELi1ELi2ENSC_IJLi1ELi32ELi1ELi8EEEELi4ELNS_26BlockGemmPipelineSchedulerE0ELNS_24BlockGemmPipelineVersionE2ES6_S6_Lb0ELb0ELb0ELi0ELb0EEELb1ELNS_25InMemoryDataOperationEnumE0ELi1ELNS_10TailNumberE10EEEvNT_8ArgumentE ; -- Begin function _ZN2ck27kernel_gemm_xdl_cshuffle_v3INS_28GridwiseGemm_xdl_cshuffle_v3INS_13tensor_layout4gemm8RowMajorENS3_11ColumnMajorES4_NS_9f8_fnuz_tES6_fDF16_DF16_NS_16tensor_operation12element_wise11PassThroughES9_S9_LNS7_6device18GemmSpecializationE0ELi256ELi224ELi256ELi128ELi16ELi16ELi16ELi16ELi7ELi4ENS_8SequenceIJLi8ELi32ELi1EEEENSC_IJLi1ELi0ELi2EEEESE_Li2ELi16ELi16ELb0ELi0ESD_SE_SE_Li2ELi16ELi16ELb0ELi0ELi1ELi2ENSC_IJLi1ELi32ELi1ELi8EEEELi4ELNS_26BlockGemmPipelineSchedulerE0ELNS_24BlockGemmPipelineVersionE2ES6_S6_Lb0ELb0ELb0ELi0ELb0EEELb1ELNS_25InMemoryDataOperationEnumE0ELi1ELNS_10TailNumberE10EEEvNT_8ArgumentE
	.globl	_ZN2ck27kernel_gemm_xdl_cshuffle_v3INS_28GridwiseGemm_xdl_cshuffle_v3INS_13tensor_layout4gemm8RowMajorENS3_11ColumnMajorES4_NS_9f8_fnuz_tES6_fDF16_DF16_NS_16tensor_operation12element_wise11PassThroughES9_S9_LNS7_6device18GemmSpecializationE0ELi256ELi224ELi256ELi128ELi16ELi16ELi16ELi16ELi7ELi4ENS_8SequenceIJLi8ELi32ELi1EEEENSC_IJLi1ELi0ELi2EEEESE_Li2ELi16ELi16ELb0ELi0ESD_SE_SE_Li2ELi16ELi16ELb0ELi0ELi1ELi2ENSC_IJLi1ELi32ELi1ELi8EEEELi4ELNS_26BlockGemmPipelineSchedulerE0ELNS_24BlockGemmPipelineVersionE2ES6_S6_Lb0ELb0ELb0ELi0ELb0EEELb1ELNS_25InMemoryDataOperationEnumE0ELi1ELNS_10TailNumberE10EEEvNT_8ArgumentE
	.p2align	8
	.type	_ZN2ck27kernel_gemm_xdl_cshuffle_v3INS_28GridwiseGemm_xdl_cshuffle_v3INS_13tensor_layout4gemm8RowMajorENS3_11ColumnMajorES4_NS_9f8_fnuz_tES6_fDF16_DF16_NS_16tensor_operation12element_wise11PassThroughES9_S9_LNS7_6device18GemmSpecializationE0ELi256ELi224ELi256ELi128ELi16ELi16ELi16ELi16ELi7ELi4ENS_8SequenceIJLi8ELi32ELi1EEEENSC_IJLi1ELi0ELi2EEEESE_Li2ELi16ELi16ELb0ELi0ESD_SE_SE_Li2ELi16ELi16ELb0ELi0ELi1ELi2ENSC_IJLi1ELi32ELi1ELi8EEEELi4ELNS_26BlockGemmPipelineSchedulerE0ELNS_24BlockGemmPipelineVersionE2ES6_S6_Lb0ELb0ELb0ELi0ELb0EEELb1ELNS_25InMemoryDataOperationEnumE0ELi1ELNS_10TailNumberE10EEEvNT_8ArgumentE,@function
_ZN2ck27kernel_gemm_xdl_cshuffle_v3INS_28GridwiseGemm_xdl_cshuffle_v3INS_13tensor_layout4gemm8RowMajorENS3_11ColumnMajorES4_NS_9f8_fnuz_tES6_fDF16_DF16_NS_16tensor_operation12element_wise11PassThroughES9_S9_LNS7_6device18GemmSpecializationE0ELi256ELi224ELi256ELi128ELi16ELi16ELi16ELi16ELi7ELi4ENS_8SequenceIJLi8ELi32ELi1EEEENSC_IJLi1ELi0ELi2EEEESE_Li2ELi16ELi16ELb0ELi0ESD_SE_SE_Li2ELi16ELi16ELb0ELi0ELi1ELi2ENSC_IJLi1ELi32ELi1ELi8EEEELi4ELNS_26BlockGemmPipelineSchedulerE0ELNS_24BlockGemmPipelineVersionE2ES6_S6_Lb0ELb0ELb0ELi0ELb0EEELb1ELNS_25InMemoryDataOperationEnumE0ELi1ELNS_10TailNumberE10EEEvNT_8ArgumentE: ; @_ZN2ck27kernel_gemm_xdl_cshuffle_v3INS_28GridwiseGemm_xdl_cshuffle_v3INS_13tensor_layout4gemm8RowMajorENS3_11ColumnMajorES4_NS_9f8_fnuz_tES6_fDF16_DF16_NS_16tensor_operation12element_wise11PassThroughES9_S9_LNS7_6device18GemmSpecializationE0ELi256ELi224ELi256ELi128ELi16ELi16ELi16ELi16ELi7ELi4ENS_8SequenceIJLi8ELi32ELi1EEEENSC_IJLi1ELi0ELi2EEEESE_Li2ELi16ELi16ELb0ELi0ESD_SE_SE_Li2ELi16ELi16ELb0ELi0ELi1ELi2ENSC_IJLi1ELi32ELi1ELi8EEEELi4ELNS_26BlockGemmPipelineSchedulerE0ELNS_24BlockGemmPipelineVersionE2ES6_S6_Lb0ELb0ELb0ELi0ELb0EEELb1ELNS_25InMemoryDataOperationEnumE0ELi1ELNS_10TailNumberE10EEEvNT_8ArgumentE
; %bb.0:
	s_endpgm
	.section	.rodata,"a",@progbits
	.p2align	6, 0x0
	.amdhsa_kernel _ZN2ck27kernel_gemm_xdl_cshuffle_v3INS_28GridwiseGemm_xdl_cshuffle_v3INS_13tensor_layout4gemm8RowMajorENS3_11ColumnMajorES4_NS_9f8_fnuz_tES6_fDF16_DF16_NS_16tensor_operation12element_wise11PassThroughES9_S9_LNS7_6device18GemmSpecializationE0ELi256ELi224ELi256ELi128ELi16ELi16ELi16ELi16ELi7ELi4ENS_8SequenceIJLi8ELi32ELi1EEEENSC_IJLi1ELi0ELi2EEEESE_Li2ELi16ELi16ELb0ELi0ESD_SE_SE_Li2ELi16ELi16ELb0ELi0ELi1ELi2ENSC_IJLi1ELi32ELi1ELi8EEEELi4ELNS_26BlockGemmPipelineSchedulerE0ELNS_24BlockGemmPipelineVersionE2ES6_S6_Lb0ELb0ELb0ELi0ELb0EEELb1ELNS_25InMemoryDataOperationEnumE0ELi1ELNS_10TailNumberE10EEEvNT_8ArgumentE
		.amdhsa_group_segment_fixed_size 0
		.amdhsa_private_segment_fixed_size 0
		.amdhsa_kernarg_size 112
		.amdhsa_user_sgpr_count 2
		.amdhsa_user_sgpr_dispatch_ptr 0
		.amdhsa_user_sgpr_queue_ptr 0
		.amdhsa_user_sgpr_kernarg_segment_ptr 1
		.amdhsa_user_sgpr_dispatch_id 0
		.amdhsa_user_sgpr_kernarg_preload_length 0
		.amdhsa_user_sgpr_kernarg_preload_offset 0
		.amdhsa_user_sgpr_private_segment_size 0
		.amdhsa_uses_dynamic_stack 0
		.amdhsa_enable_private_segment 0
		.amdhsa_system_sgpr_workgroup_id_x 1
		.amdhsa_system_sgpr_workgroup_id_y 0
		.amdhsa_system_sgpr_workgroup_id_z 0
		.amdhsa_system_sgpr_workgroup_info 0
		.amdhsa_system_vgpr_workitem_id 0
		.amdhsa_next_free_vgpr 1
		.amdhsa_next_free_sgpr 0
		.amdhsa_accum_offset 4
		.amdhsa_reserve_vcc 0
		.amdhsa_float_round_mode_32 0
		.amdhsa_float_round_mode_16_64 0
		.amdhsa_float_denorm_mode_32 3
		.amdhsa_float_denorm_mode_16_64 3
		.amdhsa_dx10_clamp 1
		.amdhsa_ieee_mode 1
		.amdhsa_fp16_overflow 0
		.amdhsa_tg_split 0
		.amdhsa_exception_fp_ieee_invalid_op 0
		.amdhsa_exception_fp_denorm_src 0
		.amdhsa_exception_fp_ieee_div_zero 0
		.amdhsa_exception_fp_ieee_overflow 0
		.amdhsa_exception_fp_ieee_underflow 0
		.amdhsa_exception_fp_ieee_inexact 0
		.amdhsa_exception_int_div_zero 0
	.end_amdhsa_kernel
	.section	.text._ZN2ck27kernel_gemm_xdl_cshuffle_v3INS_28GridwiseGemm_xdl_cshuffle_v3INS_13tensor_layout4gemm8RowMajorENS3_11ColumnMajorES4_NS_9f8_fnuz_tES6_fDF16_DF16_NS_16tensor_operation12element_wise11PassThroughES9_S9_LNS7_6device18GemmSpecializationE0ELi256ELi224ELi256ELi128ELi16ELi16ELi16ELi16ELi7ELi4ENS_8SequenceIJLi8ELi32ELi1EEEENSC_IJLi1ELi0ELi2EEEESE_Li2ELi16ELi16ELb0ELi0ESD_SE_SE_Li2ELi16ELi16ELb0ELi0ELi1ELi2ENSC_IJLi1ELi32ELi1ELi8EEEELi4ELNS_26BlockGemmPipelineSchedulerE0ELNS_24BlockGemmPipelineVersionE2ES6_S6_Lb0ELb0ELb0ELi0ELb0EEELb1ELNS_25InMemoryDataOperationEnumE0ELi1ELNS_10TailNumberE10EEEvNT_8ArgumentE,"axG",@progbits,_ZN2ck27kernel_gemm_xdl_cshuffle_v3INS_28GridwiseGemm_xdl_cshuffle_v3INS_13tensor_layout4gemm8RowMajorENS3_11ColumnMajorES4_NS_9f8_fnuz_tES6_fDF16_DF16_NS_16tensor_operation12element_wise11PassThroughES9_S9_LNS7_6device18GemmSpecializationE0ELi256ELi224ELi256ELi128ELi16ELi16ELi16ELi16ELi7ELi4ENS_8SequenceIJLi8ELi32ELi1EEEENSC_IJLi1ELi0ELi2EEEESE_Li2ELi16ELi16ELb0ELi0ESD_SE_SE_Li2ELi16ELi16ELb0ELi0ELi1ELi2ENSC_IJLi1ELi32ELi1ELi8EEEELi4ELNS_26BlockGemmPipelineSchedulerE0ELNS_24BlockGemmPipelineVersionE2ES6_S6_Lb0ELb0ELb0ELi0ELb0EEELb1ELNS_25InMemoryDataOperationEnumE0ELi1ELNS_10TailNumberE10EEEvNT_8ArgumentE,comdat
.Lfunc_end4:
	.size	_ZN2ck27kernel_gemm_xdl_cshuffle_v3INS_28GridwiseGemm_xdl_cshuffle_v3INS_13tensor_layout4gemm8RowMajorENS3_11ColumnMajorES4_NS_9f8_fnuz_tES6_fDF16_DF16_NS_16tensor_operation12element_wise11PassThroughES9_S9_LNS7_6device18GemmSpecializationE0ELi256ELi224ELi256ELi128ELi16ELi16ELi16ELi16ELi7ELi4ENS_8SequenceIJLi8ELi32ELi1EEEENSC_IJLi1ELi0ELi2EEEESE_Li2ELi16ELi16ELb0ELi0ESD_SE_SE_Li2ELi16ELi16ELb0ELi0ELi1ELi2ENSC_IJLi1ELi32ELi1ELi8EEEELi4ELNS_26BlockGemmPipelineSchedulerE0ELNS_24BlockGemmPipelineVersionE2ES6_S6_Lb0ELb0ELb0ELi0ELb0EEELb1ELNS_25InMemoryDataOperationEnumE0ELi1ELNS_10TailNumberE10EEEvNT_8ArgumentE, .Lfunc_end4-_ZN2ck27kernel_gemm_xdl_cshuffle_v3INS_28GridwiseGemm_xdl_cshuffle_v3INS_13tensor_layout4gemm8RowMajorENS3_11ColumnMajorES4_NS_9f8_fnuz_tES6_fDF16_DF16_NS_16tensor_operation12element_wise11PassThroughES9_S9_LNS7_6device18GemmSpecializationE0ELi256ELi224ELi256ELi128ELi16ELi16ELi16ELi16ELi7ELi4ENS_8SequenceIJLi8ELi32ELi1EEEENSC_IJLi1ELi0ELi2EEEESE_Li2ELi16ELi16ELb0ELi0ESD_SE_SE_Li2ELi16ELi16ELb0ELi0ELi1ELi2ENSC_IJLi1ELi32ELi1ELi8EEEELi4ELNS_26BlockGemmPipelineSchedulerE0ELNS_24BlockGemmPipelineVersionE2ES6_S6_Lb0ELb0ELb0ELi0ELb0EEELb1ELNS_25InMemoryDataOperationEnumE0ELi1ELNS_10TailNumberE10EEEvNT_8ArgumentE
                                        ; -- End function
	.section	.AMDGPU.csdata,"",@progbits
; Kernel info:
; codeLenInByte = 4
; NumSgprs: 6
; NumVgprs: 0
; NumAgprs: 0
; TotalNumVgprs: 0
; ScratchSize: 0
; MemoryBound: 0
; FloatMode: 240
; IeeeMode: 1
; LDSByteSize: 0 bytes/workgroup (compile time only)
; SGPRBlocks: 0
; VGPRBlocks: 0
; NumSGPRsForWavesPerEU: 6
; NumVGPRsForWavesPerEU: 1
; AccumOffset: 4
; Occupancy: 8
; WaveLimiterHint : 0
; COMPUTE_PGM_RSRC2:SCRATCH_EN: 0
; COMPUTE_PGM_RSRC2:USER_SGPR: 2
; COMPUTE_PGM_RSRC2:TRAP_HANDLER: 0
; COMPUTE_PGM_RSRC2:TGID_X_EN: 1
; COMPUTE_PGM_RSRC2:TGID_Y_EN: 0
; COMPUTE_PGM_RSRC2:TGID_Z_EN: 0
; COMPUTE_PGM_RSRC2:TIDIG_COMP_CNT: 0
; COMPUTE_PGM_RSRC3_GFX90A:ACCUM_OFFSET: 0
; COMPUTE_PGM_RSRC3_GFX90A:TG_SPLIT: 0
	.text
	.p2alignl 6, 3212836864
	.fill 256, 4, 3212836864
	.type	__hip_cuid_2c421995b73c0a70,@object ; @__hip_cuid_2c421995b73c0a70
	.section	.bss,"aw",@nobits
	.globl	__hip_cuid_2c421995b73c0a70
__hip_cuid_2c421995b73c0a70:
	.byte	0                               ; 0x0
	.size	__hip_cuid_2c421995b73c0a70, 1

	.ident	"AMD clang version 19.0.0git (https://github.com/RadeonOpenCompute/llvm-project roc-6.4.0 25133 c7fe45cf4b819c5991fe208aaa96edf142730f1d)"
	.section	".note.GNU-stack","",@progbits
	.addrsig
	.addrsig_sym __hip_cuid_2c421995b73c0a70
	.amdgpu_metadata
---
amdhsa.kernels:
  - .agpr_count:     0
    .args:           []
    .group_segment_fixed_size: 0
    .kernarg_segment_align: 4
    .kernarg_segment_size: 0
    .language:       OpenCL C
    .language_version:
      - 2
      - 0
    .max_flat_workgroup_size: 1024
    .name:           _ZN2ckL12flush_icacheEv
    .private_segment_fixed_size: 0
    .sgpr_count:     6
    .sgpr_spill_count: 0
    .symbol:         _ZN2ckL12flush_icacheEv.kd
    .uniform_work_group_size: 1
    .uses_dynamic_stack: false
    .vgpr_count:     0
    .vgpr_spill_count: 0
    .wavefront_size: 64
  - .agpr_count:     256
    .args:
      - .offset:         0
        .size:           112
        .value_kind:     by_value
    .group_segment_fixed_size: 61440
    .kernarg_segment_align: 8
    .kernarg_segment_size: 112
    .language:       OpenCL C
    .language_version:
      - 2
      - 0
    .max_flat_workgroup_size: 256
    .name:           _ZN2ck27kernel_gemm_xdl_cshuffle_v3INS_28GridwiseGemm_xdl_cshuffle_v3INS_13tensor_layout4gemm8RowMajorENS3_11ColumnMajorES4_NS_9f8_fnuz_tES6_fDF16_DF16_NS_16tensor_operation12element_wise11PassThroughES9_S9_LNS7_6device18GemmSpecializationE0ELi256ELi224ELi256ELi128ELi16ELi16ELi16ELi16ELi7ELi8ENS_8SequenceIJLi8ELi32ELi1EEEENSC_IJLi1ELi0ELi2EEEESE_Li2ELi16ELi16ELb0ELi0ESD_SE_SE_Li2ELi16ELi16ELb0ELi0ELi1ELi2ENSC_IJLi1ELi32ELi1ELi8EEEELi4ELNS_26BlockGemmPipelineSchedulerE0ELNS_24BlockGemmPipelineVersionE2ES6_S6_Lb0ELb0ELb0ELi0ELb0EEELb1ELNS_25InMemoryDataOperationEnumE1ELi1ELNS_10TailNumberE10EEEvNT_8ArgumentE
    .private_segment_fixed_size: 1152
    .sgpr_count:     38
    .sgpr_spill_count: 0
    .symbol:         _ZN2ck27kernel_gemm_xdl_cshuffle_v3INS_28GridwiseGemm_xdl_cshuffle_v3INS_13tensor_layout4gemm8RowMajorENS3_11ColumnMajorES4_NS_9f8_fnuz_tES6_fDF16_DF16_NS_16tensor_operation12element_wise11PassThroughES9_S9_LNS7_6device18GemmSpecializationE0ELi256ELi224ELi256ELi128ELi16ELi16ELi16ELi16ELi7ELi8ENS_8SequenceIJLi8ELi32ELi1EEEENSC_IJLi1ELi0ELi2EEEESE_Li2ELi16ELi16ELb0ELi0ESD_SE_SE_Li2ELi16ELi16ELb0ELi0ELi1ELi2ENSC_IJLi1ELi32ELi1ELi8EEEELi4ELNS_26BlockGemmPipelineSchedulerE0ELNS_24BlockGemmPipelineVersionE2ES6_S6_Lb0ELb0ELb0ELi0ELb0EEELb1ELNS_25InMemoryDataOperationEnumE1ELi1ELNS_10TailNumberE10EEEvNT_8ArgumentE.kd
    .uniform_work_group_size: 1
    .uses_dynamic_stack: false
    .vgpr_count:     512
    .vgpr_spill_count: 617
    .wavefront_size: 64
  - .agpr_count:     256
    .args:
      - .offset:         0
        .size:           112
        .value_kind:     by_value
    .group_segment_fixed_size: 61440
    .kernarg_segment_align: 8
    .kernarg_segment_size: 112
    .language:       OpenCL C
    .language_version:
      - 2
      - 0
    .max_flat_workgroup_size: 256
    .name:           _ZN2ck27kernel_gemm_xdl_cshuffle_v3INS_28GridwiseGemm_xdl_cshuffle_v3INS_13tensor_layout4gemm8RowMajorENS3_11ColumnMajorES4_NS_9f8_fnuz_tES6_fDF16_DF16_NS_16tensor_operation12element_wise11PassThroughES9_S9_LNS7_6device18GemmSpecializationE0ELi256ELi224ELi256ELi128ELi16ELi16ELi16ELi16ELi7ELi8ENS_8SequenceIJLi8ELi32ELi1EEEENSC_IJLi1ELi0ELi2EEEESE_Li2ELi16ELi16ELb0ELi0ESD_SE_SE_Li2ELi16ELi16ELb0ELi0ELi1ELi2ENSC_IJLi1ELi32ELi1ELi8EEEELi4ELNS_26BlockGemmPipelineSchedulerE0ELNS_24BlockGemmPipelineVersionE2ES6_S6_Lb0ELb0ELb0ELi0ELb0EEELb1ELNS_25InMemoryDataOperationEnumE0ELi1ELNS_10TailNumberE10EEEvNT_8ArgumentE
    .private_segment_fixed_size: 1152
    .sgpr_count:     38
    .sgpr_spill_count: 0
    .symbol:         _ZN2ck27kernel_gemm_xdl_cshuffle_v3INS_28GridwiseGemm_xdl_cshuffle_v3INS_13tensor_layout4gemm8RowMajorENS3_11ColumnMajorES4_NS_9f8_fnuz_tES6_fDF16_DF16_NS_16tensor_operation12element_wise11PassThroughES9_S9_LNS7_6device18GemmSpecializationE0ELi256ELi224ELi256ELi128ELi16ELi16ELi16ELi16ELi7ELi8ENS_8SequenceIJLi8ELi32ELi1EEEENSC_IJLi1ELi0ELi2EEEESE_Li2ELi16ELi16ELb0ELi0ESD_SE_SE_Li2ELi16ELi16ELb0ELi0ELi1ELi2ENSC_IJLi1ELi32ELi1ELi8EEEELi4ELNS_26BlockGemmPipelineSchedulerE0ELNS_24BlockGemmPipelineVersionE2ES6_S6_Lb0ELb0ELb0ELi0ELb0EEELb1ELNS_25InMemoryDataOperationEnumE0ELi1ELNS_10TailNumberE10EEEvNT_8ArgumentE.kd
    .uniform_work_group_size: 1
    .uses_dynamic_stack: false
    .vgpr_count:     512
    .vgpr_spill_count: 612
    .wavefront_size: 64
  - .agpr_count:     0
    .args:
      - .offset:         0
        .size:           112
        .value_kind:     by_value
    .group_segment_fixed_size: 0
    .kernarg_segment_align: 8
    .kernarg_segment_size: 112
    .language:       OpenCL C
    .language_version:
      - 2
      - 0
    .max_flat_workgroup_size: 256
    .name:           _ZN2ck27kernel_gemm_xdl_cshuffle_v3INS_28GridwiseGemm_xdl_cshuffle_v3INS_13tensor_layout4gemm8RowMajorENS3_11ColumnMajorES4_NS_9f8_fnuz_tES6_fDF16_DF16_NS_16tensor_operation12element_wise11PassThroughES9_S9_LNS7_6device18GemmSpecializationE0ELi256ELi224ELi256ELi128ELi16ELi16ELi16ELi16ELi7ELi4ENS_8SequenceIJLi8ELi32ELi1EEEENSC_IJLi1ELi0ELi2EEEESE_Li2ELi16ELi16ELb0ELi0ESD_SE_SE_Li2ELi16ELi16ELb0ELi0ELi1ELi2ENSC_IJLi1ELi32ELi1ELi8EEEELi4ELNS_26BlockGemmPipelineSchedulerE0ELNS_24BlockGemmPipelineVersionE2ES6_S6_Lb0ELb0ELb0ELi0ELb0EEELb1ELNS_25InMemoryDataOperationEnumE1ELi1ELNS_10TailNumberE10EEEvNT_8ArgumentE
    .private_segment_fixed_size: 0
    .sgpr_count:     6
    .sgpr_spill_count: 0
    .symbol:         _ZN2ck27kernel_gemm_xdl_cshuffle_v3INS_28GridwiseGemm_xdl_cshuffle_v3INS_13tensor_layout4gemm8RowMajorENS3_11ColumnMajorES4_NS_9f8_fnuz_tES6_fDF16_DF16_NS_16tensor_operation12element_wise11PassThroughES9_S9_LNS7_6device18GemmSpecializationE0ELi256ELi224ELi256ELi128ELi16ELi16ELi16ELi16ELi7ELi4ENS_8SequenceIJLi8ELi32ELi1EEEENSC_IJLi1ELi0ELi2EEEESE_Li2ELi16ELi16ELb0ELi0ESD_SE_SE_Li2ELi16ELi16ELb0ELi0ELi1ELi2ENSC_IJLi1ELi32ELi1ELi8EEEELi4ELNS_26BlockGemmPipelineSchedulerE0ELNS_24BlockGemmPipelineVersionE2ES6_S6_Lb0ELb0ELb0ELi0ELb0EEELb1ELNS_25InMemoryDataOperationEnumE1ELi1ELNS_10TailNumberE10EEEvNT_8ArgumentE.kd
    .uniform_work_group_size: 1
    .uses_dynamic_stack: false
    .vgpr_count:     0
    .vgpr_spill_count: 0
    .wavefront_size: 64
  - .agpr_count:     0
    .args:
      - .offset:         0
        .size:           112
        .value_kind:     by_value
    .group_segment_fixed_size: 0
    .kernarg_segment_align: 8
    .kernarg_segment_size: 112
    .language:       OpenCL C
    .language_version:
      - 2
      - 0
    .max_flat_workgroup_size: 256
    .name:           _ZN2ck27kernel_gemm_xdl_cshuffle_v3INS_28GridwiseGemm_xdl_cshuffle_v3INS_13tensor_layout4gemm8RowMajorENS3_11ColumnMajorES4_NS_9f8_fnuz_tES6_fDF16_DF16_NS_16tensor_operation12element_wise11PassThroughES9_S9_LNS7_6device18GemmSpecializationE0ELi256ELi224ELi256ELi128ELi16ELi16ELi16ELi16ELi7ELi4ENS_8SequenceIJLi8ELi32ELi1EEEENSC_IJLi1ELi0ELi2EEEESE_Li2ELi16ELi16ELb0ELi0ESD_SE_SE_Li2ELi16ELi16ELb0ELi0ELi1ELi2ENSC_IJLi1ELi32ELi1ELi8EEEELi4ELNS_26BlockGemmPipelineSchedulerE0ELNS_24BlockGemmPipelineVersionE2ES6_S6_Lb0ELb0ELb0ELi0ELb0EEELb1ELNS_25InMemoryDataOperationEnumE0ELi1ELNS_10TailNumberE10EEEvNT_8ArgumentE
    .private_segment_fixed_size: 0
    .sgpr_count:     6
    .sgpr_spill_count: 0
    .symbol:         _ZN2ck27kernel_gemm_xdl_cshuffle_v3INS_28GridwiseGemm_xdl_cshuffle_v3INS_13tensor_layout4gemm8RowMajorENS3_11ColumnMajorES4_NS_9f8_fnuz_tES6_fDF16_DF16_NS_16tensor_operation12element_wise11PassThroughES9_S9_LNS7_6device18GemmSpecializationE0ELi256ELi224ELi256ELi128ELi16ELi16ELi16ELi16ELi7ELi4ENS_8SequenceIJLi8ELi32ELi1EEEENSC_IJLi1ELi0ELi2EEEESE_Li2ELi16ELi16ELb0ELi0ESD_SE_SE_Li2ELi16ELi16ELb0ELi0ELi1ELi2ENSC_IJLi1ELi32ELi1ELi8EEEELi4ELNS_26BlockGemmPipelineSchedulerE0ELNS_24BlockGemmPipelineVersionE2ES6_S6_Lb0ELb0ELb0ELi0ELb0EEELb1ELNS_25InMemoryDataOperationEnumE0ELi1ELNS_10TailNumberE10EEEvNT_8ArgumentE.kd
    .uniform_work_group_size: 1
    .uses_dynamic_stack: false
    .vgpr_count:     0
    .vgpr_spill_count: 0
    .wavefront_size: 64
amdhsa.target:   amdgcn-amd-amdhsa--gfx942
amdhsa.version:
  - 1
  - 2
...

	.end_amdgpu_metadata
